;; amdgpu-corpus repo=ROCm/rocFFT kind=compiled arch=gfx906 opt=O3
	.text
	.amdgcn_target "amdgcn-amd-amdhsa--gfx906"
	.amdhsa_code_object_version 6
	.protected	fft_rtc_fwd_len480_factors_10_8_6_wgs_64_tpt_16_halfLds_dp_op_CI_CI_sbrr_dirReg ; -- Begin function fft_rtc_fwd_len480_factors_10_8_6_wgs_64_tpt_16_halfLds_dp_op_CI_CI_sbrr_dirReg
	.globl	fft_rtc_fwd_len480_factors_10_8_6_wgs_64_tpt_16_halfLds_dp_op_CI_CI_sbrr_dirReg
	.p2align	8
	.type	fft_rtc_fwd_len480_factors_10_8_6_wgs_64_tpt_16_halfLds_dp_op_CI_CI_sbrr_dirReg,@function
fft_rtc_fwd_len480_factors_10_8_6_wgs_64_tpt_16_halfLds_dp_op_CI_CI_sbrr_dirReg: ; @fft_rtc_fwd_len480_factors_10_8_6_wgs_64_tpt_16_halfLds_dp_op_CI_CI_sbrr_dirReg
; %bb.0:
	s_load_dwordx4 s[16:19], s[4:5], 0x18
	s_load_dwordx4 s[12:15], s[4:5], 0x0
	;; [unrolled: 1-line block ×3, first 2 shown]
	v_lshrrev_b32_e32 v38, 4, v0
	v_mov_b32_e32 v3, 0
	s_waitcnt lgkmcnt(0)
	s_load_dwordx2 s[2:3], s[16:17], 0x0
	s_load_dwordx2 s[20:21], s[18:19], 0x0
	v_cmp_lt_u64_e64 s[0:1], s[14:15], 2
	v_mov_b32_e32 v1, 0
	v_lshl_or_b32 v5, s6, 2, v38
	v_mov_b32_e32 v6, v3
	s_and_b64 vcc, exec, s[0:1]
	v_mov_b32_e32 v2, 0
	s_cbranch_vccnz .LBB0_8
; %bb.1:
	s_load_dwordx2 s[0:1], s[4:5], 0x10
	s_add_u32 s6, s18, 8
	s_addc_u32 s7, s19, 0
	s_add_u32 s22, s16, 8
	v_mov_b32_e32 v1, 0
	s_addc_u32 s23, s17, 0
	v_mov_b32_e32 v2, 0
	s_waitcnt lgkmcnt(0)
	s_add_u32 s24, s0, 8
	v_mov_b32_e32 v171, v2
	s_addc_u32 s25, s1, 0
	s_mov_b64 s[26:27], 1
	v_mov_b32_e32 v170, v1
.LBB0_2:                                ; =>This Inner Loop Header: Depth=1
	s_load_dwordx2 s[28:29], s[24:25], 0x0
                                        ; implicit-def: $vgpr172_vgpr173
	s_waitcnt lgkmcnt(0)
	v_or_b32_e32 v4, s29, v6
	v_cmp_ne_u64_e32 vcc, 0, v[3:4]
	s_and_saveexec_b64 s[0:1], vcc
	s_xor_b64 s[30:31], exec, s[0:1]
	s_cbranch_execz .LBB0_4
; %bb.3:                                ;   in Loop: Header=BB0_2 Depth=1
	v_cvt_f32_u32_e32 v4, s28
	v_cvt_f32_u32_e32 v7, s29
	s_sub_u32 s0, 0, s28
	s_subb_u32 s1, 0, s29
	v_mac_f32_e32 v4, 0x4f800000, v7
	v_rcp_f32_e32 v4, v4
	v_mul_f32_e32 v4, 0x5f7ffffc, v4
	v_mul_f32_e32 v7, 0x2f800000, v4
	v_trunc_f32_e32 v7, v7
	v_mac_f32_e32 v4, 0xcf800000, v7
	v_cvt_u32_f32_e32 v7, v7
	v_cvt_u32_f32_e32 v4, v4
	v_mul_lo_u32 v8, s0, v7
	v_mul_hi_u32 v9, s0, v4
	v_mul_lo_u32 v11, s1, v4
	v_mul_lo_u32 v10, s0, v4
	v_add_u32_e32 v8, v9, v8
	v_add_u32_e32 v8, v8, v11
	v_mul_hi_u32 v9, v4, v10
	v_mul_lo_u32 v11, v4, v8
	v_mul_hi_u32 v13, v4, v8
	v_mul_hi_u32 v12, v7, v10
	v_mul_lo_u32 v10, v7, v10
	v_mul_hi_u32 v14, v7, v8
	v_add_co_u32_e32 v9, vcc, v9, v11
	v_addc_co_u32_e32 v11, vcc, 0, v13, vcc
	v_mul_lo_u32 v8, v7, v8
	v_add_co_u32_e32 v9, vcc, v9, v10
	v_addc_co_u32_e32 v9, vcc, v11, v12, vcc
	v_addc_co_u32_e32 v10, vcc, 0, v14, vcc
	v_add_co_u32_e32 v8, vcc, v9, v8
	v_addc_co_u32_e32 v9, vcc, 0, v10, vcc
	v_add_co_u32_e32 v4, vcc, v4, v8
	v_addc_co_u32_e32 v7, vcc, v7, v9, vcc
	v_mul_lo_u32 v8, s0, v7
	v_mul_hi_u32 v9, s0, v4
	v_mul_lo_u32 v10, s1, v4
	v_mul_lo_u32 v11, s0, v4
	v_add_u32_e32 v8, v9, v8
	v_add_u32_e32 v8, v8, v10
	v_mul_lo_u32 v12, v4, v8
	v_mul_hi_u32 v13, v4, v11
	v_mul_hi_u32 v14, v4, v8
	;; [unrolled: 1-line block ×3, first 2 shown]
	v_mul_lo_u32 v11, v7, v11
	v_mul_hi_u32 v9, v7, v8
	v_add_co_u32_e32 v12, vcc, v13, v12
	v_addc_co_u32_e32 v13, vcc, 0, v14, vcc
	v_mul_lo_u32 v8, v7, v8
	v_add_co_u32_e32 v11, vcc, v12, v11
	v_addc_co_u32_e32 v10, vcc, v13, v10, vcc
	v_addc_co_u32_e32 v9, vcc, 0, v9, vcc
	v_add_co_u32_e32 v8, vcc, v10, v8
	v_addc_co_u32_e32 v9, vcc, 0, v9, vcc
	v_add_co_u32_e32 v4, vcc, v4, v8
	v_addc_co_u32_e32 v9, vcc, v7, v9, vcc
	v_mad_u64_u32 v[7:8], s[0:1], v5, v9, 0
	v_mul_hi_u32 v10, v5, v4
	v_add_co_u32_e32 v11, vcc, v10, v7
	v_addc_co_u32_e32 v12, vcc, 0, v8, vcc
	v_mad_u64_u32 v[7:8], s[0:1], v6, v4, 0
	v_mad_u64_u32 v[9:10], s[0:1], v6, v9, 0
	v_add_co_u32_e32 v4, vcc, v11, v7
	v_addc_co_u32_e32 v4, vcc, v12, v8, vcc
	v_addc_co_u32_e32 v7, vcc, 0, v10, vcc
	v_add_co_u32_e32 v4, vcc, v4, v9
	v_addc_co_u32_e32 v9, vcc, 0, v7, vcc
	v_mul_lo_u32 v10, s29, v4
	v_mul_lo_u32 v11, s28, v9
	v_mad_u64_u32 v[7:8], s[0:1], s28, v4, 0
	v_add3_u32 v8, v8, v11, v10
	v_sub_u32_e32 v10, v6, v8
	v_mov_b32_e32 v11, s29
	v_sub_co_u32_e32 v7, vcc, v5, v7
	v_subb_co_u32_e64 v10, s[0:1], v10, v11, vcc
	v_subrev_co_u32_e64 v11, s[0:1], s28, v7
	v_subbrev_co_u32_e64 v10, s[0:1], 0, v10, s[0:1]
	v_cmp_le_u32_e64 s[0:1], s29, v10
	v_cndmask_b32_e64 v12, 0, -1, s[0:1]
	v_cmp_le_u32_e64 s[0:1], s28, v11
	v_cndmask_b32_e64 v11, 0, -1, s[0:1]
	v_cmp_eq_u32_e64 s[0:1], s29, v10
	v_cndmask_b32_e64 v10, v12, v11, s[0:1]
	v_add_co_u32_e64 v11, s[0:1], 2, v4
	v_addc_co_u32_e64 v12, s[0:1], 0, v9, s[0:1]
	v_add_co_u32_e64 v13, s[0:1], 1, v4
	v_addc_co_u32_e64 v14, s[0:1], 0, v9, s[0:1]
	v_subb_co_u32_e32 v8, vcc, v6, v8, vcc
	v_cmp_ne_u32_e64 s[0:1], 0, v10
	v_cmp_le_u32_e32 vcc, s29, v8
	v_cndmask_b32_e64 v10, v14, v12, s[0:1]
	v_cndmask_b32_e64 v12, 0, -1, vcc
	v_cmp_le_u32_e32 vcc, s28, v7
	v_cndmask_b32_e64 v7, 0, -1, vcc
	v_cmp_eq_u32_e32 vcc, s29, v8
	v_cndmask_b32_e32 v7, v12, v7, vcc
	v_cmp_ne_u32_e32 vcc, 0, v7
	v_cndmask_b32_e64 v7, v13, v11, s[0:1]
	v_cndmask_b32_e32 v173, v9, v10, vcc
	v_cndmask_b32_e32 v172, v4, v7, vcc
.LBB0_4:                                ;   in Loop: Header=BB0_2 Depth=1
	s_andn2_saveexec_b64 s[0:1], s[30:31]
	s_cbranch_execz .LBB0_6
; %bb.5:                                ;   in Loop: Header=BB0_2 Depth=1
	v_cvt_f32_u32_e32 v4, s28
	s_sub_i32 s30, 0, s28
	v_mov_b32_e32 v173, v3
	v_rcp_iflag_f32_e32 v4, v4
	v_mul_f32_e32 v4, 0x4f7ffffe, v4
	v_cvt_u32_f32_e32 v4, v4
	v_mul_lo_u32 v7, s30, v4
	v_mul_hi_u32 v7, v4, v7
	v_add_u32_e32 v4, v4, v7
	v_mul_hi_u32 v4, v5, v4
	v_mul_lo_u32 v7, v4, s28
	v_add_u32_e32 v8, 1, v4
	v_sub_u32_e32 v7, v5, v7
	v_subrev_u32_e32 v9, s28, v7
	v_cmp_le_u32_e32 vcc, s28, v7
	v_cndmask_b32_e32 v7, v7, v9, vcc
	v_cndmask_b32_e32 v4, v4, v8, vcc
	v_add_u32_e32 v8, 1, v4
	v_cmp_le_u32_e32 vcc, s28, v7
	v_cndmask_b32_e32 v172, v4, v8, vcc
.LBB0_6:                                ;   in Loop: Header=BB0_2 Depth=1
	s_or_b64 exec, exec, s[0:1]
	v_mul_lo_u32 v4, v173, s28
	v_mul_lo_u32 v9, v172, s29
	v_mad_u64_u32 v[7:8], s[0:1], v172, s28, 0
	s_load_dwordx2 s[0:1], s[22:23], 0x0
	s_load_dwordx2 s[28:29], s[6:7], 0x0
	v_add3_u32 v4, v8, v9, v4
	v_sub_co_u32_e32 v5, vcc, v5, v7
	v_subb_co_u32_e32 v4, vcc, v6, v4, vcc
	s_waitcnt lgkmcnt(0)
	v_mul_lo_u32 v6, s0, v4
	v_mul_lo_u32 v7, s1, v5
	v_mad_u64_u32 v[1:2], s[0:1], s0, v5, v[1:2]
	v_mul_lo_u32 v4, s28, v4
	v_mul_lo_u32 v8, s29, v5
	v_mad_u64_u32 v[170:171], s[0:1], s28, v5, v[170:171]
	s_add_u32 s26, s26, 1
	s_addc_u32 s27, s27, 0
	s_add_u32 s6, s6, 8
	v_add3_u32 v171, v8, v171, v4
	s_addc_u32 s7, s7, 0
	v_mov_b32_e32 v4, s14
	s_add_u32 s22, s22, 8
	v_mov_b32_e32 v5, s15
	s_addc_u32 s23, s23, 0
	v_cmp_ge_u64_e32 vcc, s[26:27], v[4:5]
	s_add_u32 s24, s24, 8
	v_add3_u32 v2, v7, v2, v6
	s_addc_u32 s25, s25, 0
	s_cbranch_vccnz .LBB0_9
; %bb.7:                                ;   in Loop: Header=BB0_2 Depth=1
	v_mov_b32_e32 v5, v172
	v_mov_b32_e32 v6, v173
	s_branch .LBB0_2
.LBB0_8:
	v_mov_b32_e32 v171, v2
	v_mov_b32_e32 v173, v6
	;; [unrolled: 1-line block ×4, first 2 shown]
.LBB0_9:
	s_load_dwordx2 s[0:1], s[4:5], 0x28
	s_lshl_b64 s[14:15], s[14:15], 3
	s_add_u32 s4, s18, s14
	s_addc_u32 s5, s19, s15
	v_and_b32_e32 v204, 15, v0
	s_waitcnt lgkmcnt(0)
	v_cmp_gt_u64_e32 vcc, s[0:1], v[172:173]
	v_cmp_le_u64_e64 s[0:1], s[0:1], v[172:173]
                                        ; implicit-def: $vgpr205
                                        ; implicit-def: $vgpr207
                                        ; implicit-def: $vgpr206
	s_and_saveexec_b64 s[6:7], s[0:1]
	s_xor_b64 s[0:1], exec, s[6:7]
; %bb.10:
	v_and_b32_e32 v204, 15, v0
	v_or_b32_e32 v205, 16, v204
	v_or_b32_e32 v207, 32, v204
	;; [unrolled: 1-line block ×3, first 2 shown]
                                        ; implicit-def: $vgpr1_vgpr2
; %bb.11:
	s_or_saveexec_b64 s[6:7], s[0:1]
                                        ; implicit-def: $vgpr16_vgpr17
                                        ; implicit-def: $vgpr126_vgpr127
                                        ; implicit-def: $vgpr130_vgpr131
                                        ; implicit-def: $vgpr122_vgpr123
                                        ; implicit-def: $vgpr110_vgpr111
                                        ; implicit-def: $vgpr78_vgpr79
                                        ; implicit-def: $vgpr74_vgpr75
                                        ; implicit-def: $vgpr82_vgpr83
                                        ; implicit-def: $vgpr86_vgpr87
                                        ; implicit-def: $vgpr70_vgpr71
                                        ; implicit-def: $vgpr54_vgpr55
                                        ; implicit-def: $vgpr28_vgpr29
                                        ; implicit-def: $vgpr36_vgpr37
                                        ; implicit-def: $vgpr32_vgpr33
                                        ; implicit-def: $vgpr58_vgpr59
                                        ; implicit-def: $vgpr24_vgpr25
                                        ; implicit-def: $vgpr62_vgpr63
                                        ; implicit-def: $vgpr46_vgpr47
                                        ; implicit-def: $vgpr66_vgpr67
                                        ; implicit-def: $vgpr42_vgpr43
                                        ; implicit-def: $vgpr98_vgpr99
                                        ; implicit-def: $vgpr102_vgpr103
                                        ; implicit-def: $vgpr90_vgpr91
                                        ; implicit-def: $vgpr94_vgpr95
                                        ; implicit-def: $vgpr106_vgpr107
                                        ; implicit-def: $vgpr134_vgpr135
                                        ; implicit-def: $vgpr138_vgpr139
                                        ; implicit-def: $vgpr144_vgpr145
                                        ; implicit-def: $vgpr152_vgpr153
                                        ; implicit-def: $vgpr20_vgpr21
	s_xor_b64 exec, exec, s[6:7]
	s_cbranch_execz .LBB0_13
; %bb.12:
	s_add_u32 s0, s16, s14
	s_addc_u32 s1, s17, s15
	s_load_dwordx2 s[0:1], s[0:1], 0x0
	v_mad_u64_u32 v[3:4], s[14:15], s2, v204, 0
	v_or_b32_e32 v206, 48, v204
	v_or_b32_e32 v12, 0x120, v204
	s_waitcnt lgkmcnt(0)
	v_mul_lo_u32 v9, s1, v172
	v_mul_lo_u32 v10, s0, v173
	v_mad_u64_u32 v[5:6], s[0:1], s0, v172, 0
	v_mov_b32_e32 v0, v4
	v_mad_u64_u32 v[7:8], s[0:1], s3, v204, v[0:1]
	v_add3_u32 v6, v6, v10, v9
	v_lshlrev_b64 v[5:6], 4, v[5:6]
	v_mov_b32_e32 v4, v7
	v_mov_b32_e32 v0, s9
	v_add_co_u32_e64 v7, s[0:1], s8, v5
	v_addc_co_u32_e64 v8, s[0:1], v0, v6, s[0:1]
	v_mad_u64_u32 v[5:6], s[0:1], s2, v206, 0
	v_lshlrev_b64 v[0:1], 4, v[1:2]
	v_or_b32_e32 v24, 0x180, v204
	v_add_co_u32_e64 v22, s[0:1], v7, v0
	v_mov_b32_e32 v2, v6
	v_addc_co_u32_e64 v23, s[0:1], v8, v1, s[0:1]
	v_lshlrev_b64 v[0:1], 4, v[3:4]
	v_mad_u64_u32 v[2:3], s[0:1], s3, v206, v[2:3]
	v_add_co_u32_e64 v0, s[0:1], v22, v0
	v_mov_b32_e32 v6, v2
	v_lshlrev_b64 v[2:3], 4, v[5:6]
	v_or_b32_e32 v6, 0x60, v204
	v_addc_co_u32_e64 v1, s[0:1], v23, v1, s[0:1]
	v_mad_u64_u32 v[4:5], s[0:1], s2, v6, 0
	v_add_co_u32_e64 v2, s[0:1], v22, v2
	v_addc_co_u32_e64 v3, s[0:1], v23, v3, s[0:1]
	global_load_dwordx4 v[18:21], v[0:1], off
	global_load_dwordx4 v[14:17], v[2:3], off
	v_mad_u64_u32 v[5:6], s[0:1], s3, v6, v[5:6]
	v_or_b32_e32 v8, 0x90, v204
	v_mad_u64_u32 v[6:7], s[0:1], s2, v8, 0
	v_lshlrev_b64 v[0:1], 4, v[4:5]
	v_or_b32_e32 v5, 0xc0, v204
	v_mov_b32_e32 v2, v7
	v_mad_u64_u32 v[2:3], s[0:1], s3, v8, v[2:3]
	v_mad_u64_u32 v[8:9], s[0:1], s2, v5, 0
	v_add_co_u32_e64 v0, s[0:1], v22, v0
	v_mov_b32_e32 v7, v2
	v_mov_b32_e32 v4, v9
	v_addc_co_u32_e64 v1, s[0:1], v23, v1, s[0:1]
	v_lshlrev_b64 v[2:3], 4, v[6:7]
	v_mad_u64_u32 v[6:7], s[0:1], s3, v5, v[4:5]
	v_or_b32_e32 v7, 0xf0, v204
	v_mad_u64_u32 v[10:11], s[0:1], s2, v7, 0
	v_add_co_u32_e64 v4, s[0:1], v22, v2
	v_mov_b32_e32 v9, v6
	v_mov_b32_e32 v6, v11
	v_addc_co_u32_e64 v5, s[0:1], v23, v3, s[0:1]
	v_mad_u64_u32 v[6:7], s[0:1], s3, v7, v[6:7]
	v_lshlrev_b64 v[2:3], 4, v[8:9]
	v_mad_u64_u32 v[8:9], s[0:1], s2, v12, 0
	v_add_co_u32_e64 v2, s[0:1], v22, v2
	v_mov_b32_e32 v11, v6
	v_addc_co_u32_e64 v3, s[0:1], v23, v3, s[0:1]
	v_lshlrev_b64 v[6:7], 4, v[10:11]
	v_mad_u64_u32 v[9:10], s[0:1], s3, v12, v[9:10]
	v_or_b32_e32 v12, 0x150, v204
	v_mad_u64_u32 v[10:11], s[0:1], s2, v12, 0
	v_add_co_u32_e64 v6, s[0:1], v22, v6
	v_addc_co_u32_e64 v7, s[0:1], v23, v7, s[0:1]
	v_mad_u64_u32 v[11:12], s[0:1], s3, v12, v[11:12]
	v_mad_u64_u32 v[12:13], s[0:1], s2, v24, 0
	v_lshlrev_b64 v[8:9], 4, v[8:9]
	v_or_b32_e32 v27, 0x1b0, v204
	v_add_co_u32_e64 v8, s[0:1], v22, v8
	v_addc_co_u32_e64 v9, s[0:1], v23, v9, s[0:1]
	v_lshlrev_b64 v[10:11], 4, v[10:11]
	v_or_b32_e32 v205, 16, v204
	v_or_b32_e32 v31, 64, v204
	;; [unrolled: 1-line block ×8, first 2 shown]
	global_load_dwordx4 v[150:153], v[0:1], off
	global_load_dwordx4 v[124:127], v[4:5], off
	s_waitcnt vmcnt(2)
	v_mad_u64_u32 v[24:25], s[0:1], s3, v24, v[13:14]
	v_mad_u64_u32 v[25:26], s[0:1], s2, v27, 0
	v_add_co_u32_e64 v10, s[0:1], v22, v10
	v_mov_b32_e32 v13, v24
	v_mov_b32_e32 v24, v26
	v_addc_co_u32_e64 v11, s[0:1], v23, v11, s[0:1]
	v_mad_u64_u32 v[26:27], s[0:1], s3, v27, v[24:25]
	v_mad_u64_u32 v[27:28], s[0:1], s2, v205, 0
	v_lshlrev_b64 v[12:13], 4, v[12:13]
	v_lshlrev_b64 v[24:25], 4, v[25:26]
	v_add_co_u32_e64 v12, s[0:1], v22, v12
	v_mov_b32_e32 v26, v28
	v_addc_co_u32_e64 v13, s[0:1], v23, v13, s[0:1]
	v_mad_u64_u32 v[28:29], s[0:1], s3, v205, v[26:27]
	v_mad_u64_u32 v[29:30], s[0:1], s2, v31, 0
	v_add_co_u32_e64 v24, s[0:1], v22, v24
	v_lshlrev_b64 v[26:27], 4, v[27:28]
	v_mov_b32_e32 v28, v30
	v_addc_co_u32_e64 v25, s[0:1], v23, v25, s[0:1]
	v_mad_u64_u32 v[30:31], s[0:1], s3, v31, v[28:29]
	v_mad_u64_u32 v[31:32], s[0:1], s2, v33, 0
	v_add_co_u32_e64 v26, s[0:1], v22, v26
	v_lshlrev_b64 v[28:29], 4, v[29:30]
	;; [unrolled: 6-line block ×4, first 2 shown]
	v_mov_b32_e32 v34, v36
	v_addc_co_u32_e64 v31, s[0:1], v23, v31, s[0:1]
	v_mad_u64_u32 v[36:37], s[0:1], s3, v37, v[34:35]
	v_or_b32_e32 v37, 0x100, v204
	v_mad_u64_u32 v[39:40], s[0:1], s2, v37, 0
	v_add_co_u32_e64 v32, s[0:1], v22, v32
	v_lshlrev_b64 v[34:35], 4, v[35:36]
	v_mov_b32_e32 v36, v40
	v_addc_co_u32_e64 v33, s[0:1], v23, v33, s[0:1]
	v_mad_u64_u32 v[36:37], s[0:1], s3, v37, v[36:37]
	v_mad_u64_u32 v[41:42], s[0:1], s2, v43, 0
	v_mov_b32_e32 v40, v36
	v_add_co_u32_e64 v34, s[0:1], v22, v34
	v_lshlrev_b64 v[36:37], 4, v[39:40]
	v_mov_b32_e32 v39, v42
	v_addc_co_u32_e64 v35, s[0:1], v23, v35, s[0:1]
	v_mad_u64_u32 v[39:40], s[0:1], s3, v43, v[39:40]
	v_mad_u64_u32 v[43:44], s[0:1], s2, v45, 0
	v_mov_b32_e32 v42, v39
	v_add_co_u32_e64 v36, s[0:1], v22, v36
	v_lshlrev_b64 v[39:40], 4, v[41:42]
	v_mov_b32_e32 v41, v44
	v_addc_co_u32_e64 v37, s[0:1], v23, v37, s[0:1]
	v_mad_u64_u32 v[41:42], s[0:1], s3, v45, v[41:42]
	v_or_b32_e32 v42, 0x190, v204
	v_mad_u64_u32 v[45:46], s[0:1], s2, v42, 0
	v_add_co_u32_e64 v47, s[0:1], v22, v39
	v_mov_b32_e32 v44, v41
	v_mov_b32_e32 v41, v46
	v_addc_co_u32_e64 v48, s[0:1], v23, v40, s[0:1]
	v_lshlrev_b64 v[39:40], 4, v[43:44]
	v_mad_u64_u32 v[41:42], s[0:1], s3, v42, v[41:42]
	v_or_b32_e32 v44, 0x1c0, v204
	v_mad_u64_u32 v[42:43], s[0:1], s2, v44, 0
	v_add_co_u32_e64 v49, s[0:1], v22, v39
	v_mov_b32_e32 v46, v41
	v_mov_b32_e32 v41, v43
	v_addc_co_u32_e64 v50, s[0:1], v23, v40, s[0:1]
	v_mad_u64_u32 v[43:44], s[0:1], s3, v44, v[41:42]
	v_lshlrev_b64 v[39:40], 4, v[45:46]
	v_mad_u64_u32 v[44:45], s[0:1], s2, v207, 0
	v_add_co_u32_e64 v56, s[0:1], v22, v39
	v_mov_b32_e32 v41, v45
	v_addc_co_u32_e64 v57, s[0:1], v23, v40, s[0:1]
	v_lshlrev_b64 v[39:40], 4, v[42:43]
	v_mad_u64_u32 v[41:42], s[0:1], s3, v207, v[41:42]
	v_or_b32_e32 v46, 0x50, v204
	v_mad_u64_u32 v[42:43], s[0:1], s2, v46, 0
	v_add_co_u32_e64 v58, s[0:1], v22, v39
	v_mov_b32_e32 v45, v41
	v_mov_b32_e32 v41, v43
	v_addc_co_u32_e64 v59, s[0:1], v23, v40, s[0:1]
	v_lshlrev_b64 v[39:40], 4, v[44:45]
	v_mad_u64_u32 v[43:44], s[0:1], s3, v46, v[41:42]
	v_or_b32_e32 v46, 0x80, v204
	v_mad_u64_u32 v[44:45], s[0:1], s2, v46, 0
	v_add_co_u32_e64 v60, s[0:1], v22, v39
	v_mov_b32_e32 v41, v45
	v_addc_co_u32_e64 v61, s[0:1], v23, v40, s[0:1]
	v_lshlrev_b64 v[39:40], 4, v[42:43]
	v_mad_u64_u32 v[41:42], s[0:1], s3, v46, v[41:42]
	v_or_b32_e32 v46, 0xb0, v204
	v_mad_u64_u32 v[42:43], s[0:1], s2, v46, 0
	v_add_co_u32_e64 v62, s[0:1], v22, v39
	v_mov_b32_e32 v45, v41
	v_mov_b32_e32 v41, v43
	v_addc_co_u32_e64 v63, s[0:1], v23, v40, s[0:1]
	v_lshlrev_b64 v[39:40], 4, v[44:45]
	v_mad_u64_u32 v[43:44], s[0:1], s3, v46, v[41:42]
	v_or_b32_e32 v46, 0xe0, v204
	;; [unrolled: 15-line block ×3, first 2 shown]
	v_mad_u64_u32 v[44:45], s[0:1], s2, v46, 0
	v_add_co_u32_e64 v116, s[0:1], v22, v39
	v_mov_b32_e32 v41, v45
	v_addc_co_u32_e64 v117, s[0:1], v23, v40, s[0:1]
	v_lshlrev_b64 v[39:40], 4, v[42:43]
	v_mad_u64_u32 v[41:42], s[0:1], s3, v46, v[41:42]
	v_or_b32_e32 v46, 0x170, v204
	v_mad_u64_u32 v[42:43], s[0:1], s2, v46, 0
	v_add_co_u32_e64 v118, s[0:1], v22, v39
	v_mov_b32_e32 v45, v41
	v_mov_b32_e32 v41, v43
	v_addc_co_u32_e64 v119, s[0:1], v23, v40, s[0:1]
	v_lshlrev_b64 v[39:40], 4, v[44:45]
	v_mad_u64_u32 v[43:44], s[0:1], s3, v46, v[41:42]
	v_add_co_u32_e64 v140, s[0:1], v22, v39
	v_addc_co_u32_e64 v141, s[0:1], v23, v40, s[0:1]
	v_lshlrev_b64 v[39:40], 4, v[42:43]
	v_or_b32_e32 v43, 0x1a0, v204
	v_mad_u64_u32 v[41:42], s[0:1], s2, v43, 0
	v_add_co_u32_e64 v146, s[0:1], v22, v39
	v_mov_b32_e32 v39, v42
	v_addc_co_u32_e64 v147, s[0:1], v23, v40, s[0:1]
	v_mad_u64_u32 v[39:40], s[0:1], s3, v43, v[39:40]
	v_or_b32_e32 v40, 0x1d0, v204
	v_mad_u64_u32 v[43:44], s[0:1], s2, v40, 0
	v_mov_b32_e32 v42, v39
	v_lshlrev_b64 v[0:1], 4, v[41:42]
	v_mov_b32_e32 v4, v44
	v_mad_u64_u32 v[4:5], s[0:1], s3, v40, v[4:5]
	v_add_co_u32_e64 v0, s[0:1], v22, v0
	v_mov_b32_e32 v44, v4
	v_lshlrev_b64 v[4:5], 4, v[43:44]
	v_addc_co_u32_e64 v1, s[0:1], v23, v1, s[0:1]
	v_add_co_u32_e64 v4, s[0:1], v22, v4
	v_addc_co_u32_e64 v5, s[0:1], v23, v5, s[0:1]
	global_load_dwordx4 v[128:131], v[2:3], off
	global_load_dwordx4 v[142:145], v[6:7], off
	;; [unrolled: 1-line block ×12, first 2 shown]
                                        ; kill: killed $vgpr34 killed $vgpr35
                                        ; kill: killed $vgpr36 killed $vgpr37
                                        ; kill: killed $vgpr2 killed $vgpr3
                                        ; kill: killed $vgpr6 killed $vgpr7
                                        ; kill: killed $vgpr8 killed $vgpr9
                                        ; kill: killed $vgpr26 killed $vgpr27
                                        ; kill: killed $vgpr10 killed $vgpr11
                                        ; kill: killed $vgpr28 killed $vgpr29
                                        ; kill: killed $vgpr12 killed $vgpr13
                                        ; kill: killed $vgpr30 killed $vgpr31
                                        ; kill: killed $vgpr24 killed $vgpr25
                                        ; kill: killed $vgpr32 killed $vgpr33
	global_load_dwordx4 v[100:103], v[47:48], off
	global_load_dwordx4 v[84:87], v[49:50], off
	;; [unrolled: 1-line block ×6, first 2 shown]
                                        ; kill: killed $vgpr47 killed $vgpr48
                                        ; kill: killed $vgpr60 killed $vgpr61
                                        ; kill: killed $vgpr49 killed $vgpr50
                                        ; kill: killed $vgpr62 killed $vgpr63
                                        ; kill: killed $vgpr56 killed $vgpr57
                                        ; kill: killed $vgpr58 killed $vgpr59
	global_load_dwordx4 v[26:29], v[112:113], off
	global_load_dwordx4 v[64:67], v[114:115], off
	;; [unrolled: 1-line block ×3, first 2 shown]
                                        ; kill: killed $vgpr112 killed $vgpr113
                                        ; kill: killed $vgpr114 killed $vgpr115
                                        ; kill: killed $vgpr116 killed $vgpr117
	global_load_dwordx4 v[34:37], v[118:119], off
	s_nop 0
	global_load_dwordx4 v[60:63], v[140:141], off
                                        ; kill: killed $vgpr118 killed $vgpr119
                                        ; kill: killed $vgpr140 killed $vgpr141
	global_load_dwordx4 v[30:33], v[146:147], off
	global_load_dwordx4 v[56:59], v[0:1], off
	global_load_dwordx4 v[22:25], v[4:5], off
.LBB0_13:
	s_or_b64 exec, exec, s[6:7]
	s_waitcnt vmcnt(23)
	v_add_f64 v[0:1], v[128:129], v[120:121]
	s_waitcnt vmcnt(21)
	v_add_f64 v[4:5], v[152:153], -v[134:135]
	s_mov_b32 s14, 0x134454ff
	s_mov_b32 s15, 0x3fee6f0e
	v_mul_u32_u24_e32 v8, 0x1e0, v38
	v_add_f64 v[6:7], v[130:131], -v[122:123]
	v_add_f64 v[9:10], v[150:151], -v[128:129]
	;; [unrolled: 1-line block ×3, first 2 shown]
	v_fma_f64 v[0:1], v[0:1], -0.5, v[18:19]
	v_add_f64 v[38:39], v[132:133], v[150:151]
	s_mov_b32 s2, 0x4755a5e
	s_mov_b32 s3, 0x3fe2cf23
	;; [unrolled: 1-line block ×4, first 2 shown]
	v_add_f64 v[2:3], v[150:151], v[18:19]
	v_add_f64 v[9:10], v[11:12], v[9:10]
	v_fma_f64 v[48:49], v[4:5], s[14:15], v[0:1]
	v_fma_f64 v[11:12], v[38:39], -0.5, v[18:19]
	v_fma_f64 v[0:1], v[4:5], s[8:9], v[0:1]
	s_mov_b32 s17, 0xbfe2cf23
	s_mov_b32 s16, s2
	v_add_f64 v[38:39], v[14:15], v[124:125]
	s_mov_b32 s6, 0x372fe950
	s_mov_b32 s7, 0x3fd3c6ef
	v_fma_f64 v[18:19], v[6:7], s[2:3], v[48:49]
	v_add_f64 v[48:49], v[136:137], v[142:143]
	v_fma_f64 v[50:51], v[6:7], s[8:9], v[11:12]
	v_fma_f64 v[0:1], v[6:7], s[16:17], v[0:1]
	;; [unrolled: 1-line block ×3, first 2 shown]
	v_add_f64 v[112:113], v[120:121], -v[132:133]
	s_waitcnt vmcnt(20)
	v_add_f64 v[114:115], v[126:127], -v[110:111]
	v_add_f64 v[116:117], v[126:127], v[110:111]
	v_fma_f64 v[140:141], v[9:10], s[6:7], v[18:19]
	v_fma_f64 v[11:12], v[48:49], -0.5, v[14:15]
	v_add_f64 v[48:49], v[124:125], v[108:109]
	v_add_f64 v[18:19], v[128:129], -v[150:151]
	v_fma_f64 v[0:1], v[9:10], s[6:7], v[0:1]
	v_add_f64 v[9:10], v[38:39], v[142:143]
	v_fma_f64 v[38:39], v[4:5], s[2:3], v[50:51]
	v_fma_f64 v[4:5], v[4:5], s[16:17], v[6:7]
	v_add_f64 v[6:7], v[144:145], -v[138:139]
	v_add_f64 v[118:119], v[108:109], -v[136:137]
	v_fma_f64 v[13:14], v[48:49], -0.5, v[14:15]
	v_add_f64 v[50:51], v[112:113], v[18:19]
	v_fma_f64 v[18:19], v[114:115], s[14:15], v[11:12]
	v_add_f64 v[48:49], v[138:139], v[144:145]
	v_add_f64 v[112:113], v[124:125], -v[142:143]
	v_fma_f64 v[11:12], v[114:115], s[8:9], v[11:12]
	v_add_f64 v[154:155], v[142:143], -v[136:137]
	v_fma_f64 v[116:117], v[116:117], -0.5, v[16:17]
	v_fma_f64 v[146:147], v[6:7], s[8:9], v[13:14]
	v_add_f64 v[9:10], v[136:137], v[9:10]
	v_fma_f64 v[18:19], v[6:7], s[2:3], v[18:19]
	v_fma_f64 v[48:49], v[48:49], -0.5, v[16:17]
	v_add_f64 v[148:149], v[124:125], -v[108:109]
	v_add_f64 v[112:113], v[118:119], v[112:113]
	v_fma_f64 v[11:12], v[6:7], s[16:17], v[11:12]
	v_add_f64 v[124:125], v[142:143], -v[124:125]
	v_fma_f64 v[118:119], v[114:115], s[2:3], v[146:147]
	v_add_f64 v[136:137], v[136:137], -v[108:109]
	v_fma_f64 v[6:7], v[6:7], s[14:15], v[13:14]
	v_fma_f64 v[142:143], v[154:155], s[14:15], v[116:117]
	v_add_f64 v[146:147], v[144:145], -v[126:127]
	v_add_f64 v[156:157], v[138:139], -v[110:111]
	v_add_f64 v[2:3], v[128:129], v[2:3]
	v_fma_f64 v[13:14], v[148:149], s[8:9], v[48:49]
	v_add_f64 v[158:159], v[126:127], -v[144:145]
	v_add_f64 v[160:161], v[110:111], -v[138:139]
	v_fma_f64 v[48:49], v[148:149], s[14:15], v[48:49]
	v_fma_f64 v[116:117], v[154:155], s[8:9], v[116:117]
	v_add_f64 v[124:125], v[136:137], v[124:125]
	v_fma_f64 v[6:7], v[114:115], s[16:17], v[6:7]
	v_fma_f64 v[114:115], v[148:149], s[16:17], v[142:143]
	v_add_f64 v[136:137], v[156:157], v[146:147]
	v_add_f64 v[2:3], v[120:121], v[2:3]
	v_fma_f64 v[13:14], v[154:155], s[16:17], v[13:14]
	v_add_f64 v[142:143], v[160:161], v[158:159]
	v_fma_f64 v[146:147], v[154:155], s[2:3], v[48:49]
	v_fma_f64 v[116:117], v[148:149], s[2:3], v[116:117]
	;; [unrolled: 1-line block ×5, first 2 shown]
	s_waitcnt vmcnt(13)
	v_add_f64 v[114:115], v[80:81], v[100:101]
	s_mov_b32 s18, 0x9b97f4a8
	s_mov_b32 s19, 0x3fe9e377
	v_add_f64 v[2:3], v[132:133], v[2:3]
	v_fma_f64 v[18:19], v[112:113], s[6:7], v[11:12]
	v_fma_f64 v[182:183], v[124:125], s[6:7], v[118:119]
	;; [unrolled: 1-line block ×5, first 2 shown]
	v_mul_f64 v[6:7], v[184:185], s[18:19]
	v_mul_f64 v[11:12], v[174:175], s[14:15]
	;; [unrolled: 1-line block ×3, first 2 shown]
	v_fma_f64 v[38:39], v[50:51], s[6:7], v[38:39]
	v_fma_f64 v[4:5], v[50:51], s[6:7], v[4:5]
	v_add_f64 v[50:51], v[108:109], v[9:10]
	v_add_f64 v[136:137], v[72:73], v[104:105]
	v_fma_f64 v[142:143], v[114:115], -0.5, v[104:105]
	s_waitcnt vmcnt(11)
	v_add_f64 v[154:155], v[74:75], -v[98:99]
	v_mul_f64 v[112:113], v[18:19], s[18:19]
	v_fma_f64 v[6:7], v[176:177], s[2:3], v[6:7]
	v_fma_f64 v[108:109], v[182:183], s[6:7], v[11:12]
	v_fma_f64 v[13:14], v[180:181], s[14:15], -v[13:14]
	v_add_f64 v[9:10], v[50:51], v[2:3]
	v_add_f64 v[118:119], v[2:3], -v[50:51]
	v_add_f64 v[2:3], v[80:81], v[136:137]
	v_fma_f64 v[50:51], v[154:155], s[14:15], v[142:143]
	v_add_f64 v[136:137], v[72:73], v[96:97]
	v_add_f64 v[156:157], v[82:83], -v[102:103]
	v_add_f64 v[148:149], v[72:73], -v[80:81]
	v_add_f64 v[158:159], v[96:97], -v[100:101]
	v_fma_f64 v[160:161], v[154:155], s[8:9], v[142:143]
	v_fma_f64 v[124:125], v[178:179], s[2:3], -v[112:113]
	v_add_f64 v[11:12], v[140:141], v[6:7]
	v_add_f64 v[112:113], v[108:109], v[38:39]
	;; [unrolled: 1-line block ×3, first 2 shown]
	v_add_f64 v[140:141], v[140:141], -v[6:7]
	v_add_f64 v[2:3], v[100:101], v[2:3]
	v_add_f64 v[142:143], v[38:39], -v[108:109]
	v_fma_f64 v[6:7], v[136:137], -0.5, v[104:105]
	v_add_f64 v[146:147], v[4:5], -v[13:14]
	v_fma_f64 v[4:5], v[156:157], s[2:3], v[50:51]
	v_add_f64 v[13:14], v[148:149], v[158:159]
	v_fma_f64 v[38:39], v[156:157], s[16:17], v[160:161]
	v_add_f64 v[104:105], v[80:81], -v[72:73]
	v_add_f64 v[108:109], v[100:101], -v[96:97]
	v_add_f64 v[116:117], v[0:1], v[124:125]
	v_add_f64 v[148:149], v[0:1], -v[124:125]
	v_add_f64 v[0:1], v[96:97], v[2:3]
	v_add_f64 v[2:3], v[84:85], v[88:89]
	v_fma_f64 v[4:5], v[13:14], s[6:7], v[4:5]
	v_fma_f64 v[13:14], v[13:14], s[6:7], v[38:39]
	v_add_f64 v[38:39], v[76:77], v[92:93]
	s_waitcnt vmcnt(10)
	v_add_f64 v[124:125], v[68:69], v[92:93]
	v_add_f64 v[104:105], v[104:105], v[108:109]
	;; [unrolled: 1-line block ×3, first 2 shown]
	v_fma_f64 v[50:51], v[156:157], s[8:9], v[6:7]
	v_fma_f64 v[2:3], v[2:3], -0.5, v[76:77]
	v_add_f64 v[136:137], v[94:95], -v[70:71]
	v_fma_f64 v[6:7], v[156:157], s[14:15], v[6:7]
	v_add_f64 v[156:157], v[90:91], -v[86:87]
	v_fma_f64 v[76:77], v[124:125], -0.5, v[76:77]
	v_add_f64 v[38:39], v[88:89], v[38:39]
	v_add_f64 v[158:159], v[92:93], -v[88:89]
	v_add_f64 v[160:161], v[68:69], -v[84:85]
	v_fma_f64 v[108:109], v[108:109], -0.5, v[78:79]
	v_add_f64 v[162:163], v[92:93], -v[68:69]
	v_add_f64 v[164:165], v[70:71], v[94:95]
	v_fma_f64 v[50:51], v[154:155], s[2:3], v[50:51]
	v_fma_f64 v[124:125], v[136:137], s[14:15], v[2:3]
	v_fma_f64 v[6:7], v[154:155], s[16:17], v[6:7]
	v_fma_f64 v[154:155], v[156:157], s[8:9], v[76:77]
	v_add_f64 v[38:39], v[84:85], v[38:39]
	v_add_f64 v[158:159], v[160:161], v[158:159]
	v_fma_f64 v[2:3], v[136:137], s[8:9], v[2:3]
	v_fma_f64 v[160:161], v[162:163], s[8:9], v[108:109]
	v_add_f64 v[166:167], v[88:89], -v[84:85]
	v_fma_f64 v[164:165], v[164:165], -0.5, v[78:79]
	v_add_f64 v[88:89], v[88:89], -v[92:93]
	v_add_f64 v[84:85], v[84:85], -v[68:69]
	;; [unrolled: 1-line block ×4, first 2 shown]
	v_fma_f64 v[76:77], v[156:157], s[14:15], v[76:77]
	v_fma_f64 v[154:155], v[136:137], s[2:3], v[154:155]
	;; [unrolled: 1-line block ×5, first 2 shown]
	v_add_f64 v[188:189], v[90:91], -v[94:95]
	v_add_f64 v[190:191], v[86:87], -v[70:71]
	v_fma_f64 v[164:165], v[166:167], s[8:9], v[164:165]
	v_add_f64 v[168:169], v[168:169], v[92:93]
	v_add_f64 v[84:85], v[84:85], v[88:89]
	v_fma_f64 v[76:77], v[136:137], s[16:17], v[76:77]
	v_fma_f64 v[2:3], v[156:157], s[16:17], v[2:3]
	v_fma_f64 v[124:125], v[156:157], s[2:3], v[124:125]
	v_fma_f64 v[88:89], v[166:167], s[2:3], v[108:109]
	v_fma_f64 v[108:109], v[162:163], s[16:17], v[186:187]
	v_add_f64 v[136:137], v[190:191], v[188:189]
	v_fma_f64 v[156:157], v[162:163], s[2:3], v[164:165]
	v_fma_f64 v[92:93], v[168:169], s[6:7], v[160:161]
	;; [unrolled: 1-line block ×9, first 2 shown]
	v_mul_f64 v[2:3], v[92:93], s[2:3]
	s_waitcnt vmcnt(3)
	v_add_f64 v[136:137], v[60:61], v[44:45]
	v_mul_f64 v[108:109], v[84:85], s[6:7]
	v_mul_f64 v[124:125], v[76:77], s[18:19]
	v_add_f64 v[38:39], v[68:69], v[38:39]
	v_add_f64 v[68:69], v[52:53], v[26:27]
	v_fma_f64 v[50:51], v[104:105], s[6:7], v[50:51]
	v_fma_f64 v[6:7], v[104:105], s[6:7], v[6:7]
	;; [unrolled: 1-line block ×3, first 2 shown]
	s_waitcnt vmcnt(1)
	v_add_f64 v[166:167], v[26:27], v[56:57]
	v_fma_f64 v[104:105], v[190:191], s[14:15], -v[108:109]
	v_fma_f64 v[108:109], v[186:187], s[2:3], -v[124:125]
	v_fma_f64 v[124:125], v[136:137], -0.5, v[52:53]
	v_add_f64 v[136:137], v[28:29], -v[58:59]
	v_add_f64 v[68:69], v[68:69], v[44:45]
	v_add_f64 v[198:199], v[26:27], -v[44:45]
	v_add_f64 v[200:201], v[56:57], -v[60:61]
	v_add_f64 v[202:203], v[34:35], v[30:31]
	v_add_f64 v[154:155], v[38:39], v[0:1]
	;; [unrolled: 1-line block ×3, first 2 shown]
	v_add_f64 v[196:197], v[46:47], -v[62:63]
	v_fma_f64 v[168:169], v[136:137], s[14:15], v[124:125]
	v_add_f64 v[164:165], v[0:1], -v[38:39]
	v_fma_f64 v[0:1], v[136:137], s[8:9], v[124:125]
	v_fma_f64 v[52:53], v[166:167], -0.5, v[52:53]
	v_add_f64 v[38:39], v[4:5], -v[2:3]
	v_add_f64 v[2:3], v[60:61], v[68:69]
	v_add_f64 v[124:125], v[200:201], v[198:199]
	v_fma_f64 v[68:69], v[202:203], -0.5, v[40:41]
	s_waitcnt vmcnt(0)
	v_add_f64 v[166:167], v[66:67], -v[24:25]
	v_add_f64 v[198:199], v[44:45], -v[26:27]
	v_add_f64 v[200:201], v[60:61], -v[56:57]
	v_add_f64 v[202:203], v[22:23], v[64:65]
	v_add_f64 v[212:213], v[64:65], -v[34:35]
	v_add_f64 v[214:215], v[22:23], -v[30:31]
	v_fma_f64 v[4:5], v[196:197], s[2:3], v[168:169]
	v_fma_f64 v[0:1], v[196:197], s[16:17], v[0:1]
	;; [unrolled: 1-line block ×4, first 2 shown]
	v_add_f64 v[196:197], v[64:65], v[40:41]
	v_fma_f64 v[208:209], v[166:167], s[14:15], v[68:69]
	v_add_f64 v[210:211], v[36:37], -v[32:33]
	v_fma_f64 v[40:41], v[202:203], -0.5, v[40:41]
	v_add_f64 v[216:217], v[200:201], v[198:199]
	v_add_f64 v[198:199], v[36:37], v[32:33]
	;; [unrolled: 1-line block ×4, first 2 shown]
	v_fma_f64 v[168:169], v[136:137], s[2:3], v[168:169]
	v_fma_f64 v[52:53], v[136:137], s[16:17], v[52:53]
	v_add_f64 v[136:137], v[34:35], v[196:197]
	v_fma_f64 v[196:197], v[210:211], s[2:3], v[208:209]
	v_fma_f64 v[68:69], v[166:167], s[8:9], v[68:69]
	;; [unrolled: 1-line block ×3, first 2 shown]
	v_add_f64 v[208:209], v[34:35], -v[64:65]
	v_fma_f64 v[40:41], v[210:211], s[14:15], v[40:41]
	v_fma_f64 v[198:199], v[198:199], -0.5, v[42:43]
	v_add_f64 v[64:65], v[64:65], -v[22:23]
	v_add_f64 v[34:35], v[34:35], -v[30:31]
	v_fma_f64 v[212:213], v[212:213], -0.5, v[42:43]
	v_add_f64 v[214:215], v[30:31], -v[22:23]
	v_add_f64 v[218:219], v[66:67], -v[36:37]
	;; [unrolled: 1-line block ×3, first 2 shown]
	v_fma_f64 v[68:69], v[210:211], s[16:17], v[68:69]
	v_fma_f64 v[210:211], v[166:167], s[2:3], v[202:203]
	;; [unrolled: 1-line block ×5, first 2 shown]
	v_add_f64 v[208:209], v[214:215], v[208:209]
	v_fma_f64 v[198:199], v[64:65], s[14:15], v[198:199]
	v_add_f64 v[214:215], v[220:221], v[218:219]
	v_add_f64 v[218:219], v[36:37], -v[66:67]
	v_add_f64 v[220:221], v[32:33], -v[24:25]
	v_fma_f64 v[212:213], v[34:35], s[8:9], v[212:213]
	v_fma_f64 v[222:223], v[124:125], s[6:7], v[4:5]
	v_add_f64 v[4:5], v[30:31], v[136:137]
	v_fma_f64 v[136:137], v[34:35], s[16:17], v[166:167]
	v_fma_f64 v[224:225], v[64:65], s[16:17], v[202:203]
	;; [unrolled: 1-line block ×4, first 2 shown]
	v_add_f64 v[218:219], v[220:221], v[218:219]
	v_fma_f64 v[212:213], v[64:65], s[2:3], v[212:213]
	v_fma_f64 v[198:199], v[208:209], s[6:7], v[210:211]
	;; [unrolled: 1-line block ×5, first 2 shown]
	v_mul_f64 v[40:41], v[202:203], s[18:19]
	v_mul_f64 v[88:89], v[192:193], s[6:7]
	v_fma_f64 v[196:197], v[214:215], s[6:7], v[166:167]
	v_fma_f64 v[68:69], v[218:219], s[6:7], v[224:225]
	v_fma_f64 v[200:201], v[218:219], s[6:7], v[212:213]
	v_mul_f64 v[136:137], v[198:199], s[6:7]
	v_mul_f64 v[166:167], v[34:35], s[6:7]
	;; [unrolled: 1-line block ×3, first 2 shown]
	v_add_f64 v[2:3], v[56:57], v[2:3]
	v_fma_f64 v[212:213], v[216:217], s[6:7], v[52:53]
	v_add_f64 v[22:23], v[22:23], v[4:5]
	v_fma_f64 v[52:53], v[64:65], s[2:3], v[40:41]
	v_fma_f64 v[88:89], v[188:189], s[14:15], v[88:89]
	;; [unrolled: 1-line block ×5, first 2 shown]
	v_fma_f64 v[214:215], v[200:201], s[14:15], -v[166:167]
	v_fma_f64 v[224:225], v[196:197], s[2:3], -v[208:209]
	v_add_f64 v[208:209], v[2:3], v[22:23]
	v_add_f64 v[210:211], v[222:223], v[52:53]
	;; [unrolled: 1-line block ×7, first 2 shown]
	v_add_f64 v[166:167], v[6:7], -v[104:105]
	v_add_f64 v[4:5], v[124:125], v[224:225]
	v_add_f64 v[6:7], v[2:3], -v[22:23]
	v_add_f64 v[40:41], v[50:51], -v[88:89]
	v_add_f64 v[50:51], v[222:223], -v[52:53]
	v_add_f64 v[52:53], v[0:1], -v[136:137]
	v_add_f64 v[168:169], v[13:14], -v[108:109]
	v_add_f64 v[0:1], v[212:213], -v[214:215]
	v_add_f64 v[2:3], v[124:125], -v[224:225]
	v_lshlrev_b32_e32 v212, 3, v8
	v_add_u32_e32 v22, 0, v212
	v_mul_i32_i24_e32 v8, 10, v205
	v_mul_u32_u24_e32 v13, 10, v204
	v_lshl_add_u32 v215, v8, 3, v22
	v_mul_i32_i24_e32 v8, 10, v207
	v_lshl_add_u32 v214, v13, 3, v22
	v_lshl_add_u32 v216, v8, 3, v22
	v_lshlrev_b32_e32 v8, 3, v204
	s_load_dwordx2 s[4:5], s[4:5], 0x0
	ds_write_b128 v214, v[9:12]
	ds_write_b128 v214, v[112:115] offset:16
	ds_write_b128 v214, v[116:119] offset:32
	ds_write_b128 v214, v[140:143] offset:48
	ds_write_b128 v214, v[146:149] offset:64
	ds_write_b128 v215, v[154:157]
	ds_write_b128 v215, v[158:161] offset:16
	ds_write_b128 v215, v[162:165] offset:32
	ds_write_b128 v215, v[38:41] offset:48
	ds_write_b128 v215, v[166:169] offset:64
	;; [unrolled: 5-line block ×3, first 2 shown]
	v_add_u32_e32 v208, v22, v8
	v_add3_u32 v209, 0, v8, v212
	s_waitcnt lgkmcnt(0)
	; wave barrier
	s_waitcnt lgkmcnt(0)
	ds_read_b64 v[108:109], v208
	ds_read2_b64 v[166:169], v209 offset0:60 offset1:76
	ds_read2_b64 v[140:143], v209 offset0:92 offset1:120
	;; [unrolled: 1-line block ×4, first 2 shown]
	v_add_u32_e32 v217, 0x800, v209
	v_lshl_add_u32 v211, v207, 3, v22
	ds_read2_b64 v[158:161], v217 offset0:44 offset1:60
	ds_read2_b64 v[112:115], v217 offset0:76 offset1:104
	;; [unrolled: 1-line block ×3, first 2 shown]
	v_lshl_add_u32 v210, v205, 3, v22
	ds_read2_b64 v[146:149], v209 offset0:136 offset1:152
	ds_read2_b64 v[12:15], v217 offset1:16
	ds_read2_b64 v[116:119], v217 offset0:120 offset1:136
	ds_read_b64 v[88:89], v211
	ds_read_b64 v[104:105], v210
	ds_read_b64 v[136:137], v209 offset:3616
	v_cmp_gt_u32_e64 s[0:1], 12, v204
	v_lshlrev_b32_e32 v213, 3, v206
                                        ; implicit-def: $vgpr40_vgpr41
                                        ; implicit-def: $vgpr124_vgpr125
	s_and_saveexec_b64 s[22:23], s[0:1]
	s_cbranch_execz .LBB0_15
; %bb.14:
	v_add3_u32 v4, 0, v213, v212
	ds_read2_b64 v[218:221], v209 offset0:108 offset1:168
	v_add_u32_e32 v0, 0x400, v209
	ds_read2_b64 v[0:3], v0 offset0:100 offset1:160
	ds_read2_b64 v[38:41], v217 offset0:92 offset1:152
	ds_read_b64 v[4:5], v4
	ds_read_b64 v[124:125], v209 offset:3744
	s_waitcnt lgkmcnt(3)
	v_mov_b32_e32 v53, v1
	v_mov_b32_e32 v52, v0
	;; [unrolled: 1-line block ×5, first 2 shown]
	s_waitcnt lgkmcnt(2)
	v_mov_b32_e32 v2, v38
	v_mov_b32_e32 v50, v220
	;; [unrolled: 1-line block ×5, first 2 shown]
.LBB0_15:
	s_or_b64 exec, exec, s[22:23]
	v_add_f64 v[22:23], v[130:131], v[122:123]
	v_add_f64 v[38:39], v[134:135], v[152:153]
	;; [unrolled: 1-line block ×4, first 2 shown]
	v_add_f64 v[132:133], v[150:151], -v[132:133]
	v_add_f64 v[120:121], v[128:129], -v[120:121]
	;; [unrolled: 1-line block ×4, first 2 shown]
	v_fma_f64 v[22:23], v[22:23], -0.5, v[20:21]
	v_fma_f64 v[20:21], v[38:39], -0.5, v[20:21]
	v_add_f64 v[130:131], v[130:131], v[218:219]
	v_add_f64 v[16:17], v[16:17], v[144:145]
	v_add_f64 v[150:151], v[134:135], -v[122:123]
	v_add_f64 v[38:39], v[122:123], -v[134:135]
	v_mul_f64 v[126:127], v[184:185], s[16:17]
	v_mul_f64 v[182:183], v[182:183], s[8:9]
	v_fma_f64 v[184:185], v[132:133], s[8:9], v[22:23]
	v_fma_f64 v[22:23], v[132:133], s[14:15], v[22:23]
	;; [unrolled: 1-line block ×4, first 2 shown]
	v_add_f64 v[122:123], v[122:123], v[130:131]
	v_add_f64 v[16:17], v[138:139], v[16:17]
	;; [unrolled: 1-line block ×3, first 2 shown]
	v_mul_f64 v[138:139], v[178:179], s[18:19]
	v_fma_f64 v[130:131], v[120:121], s[16:17], v[184:185]
	v_fma_f64 v[22:23], v[120:121], s[2:3], v[22:23]
	;; [unrolled: 1-line block ×4, first 2 shown]
	v_mul_f64 v[132:133], v[180:181], s[6:7]
	v_add_f64 v[134:135], v[134:135], v[122:123]
	v_add_f64 v[16:17], v[110:111], v[16:17]
	;; [unrolled: 1-line block ×3, first 2 shown]
	v_fma_f64 v[18:19], v[18:19], s[16:17], -v[138:139]
	v_add_f64 v[138:139], v[82:83], v[102:103]
	v_fma_f64 v[152:153], v[38:39], s[6:7], v[120:121]
	v_fma_f64 v[20:21], v[38:39], s[6:7], v[20:21]
	v_fma_f64 v[48:49], v[48:49], s[8:9], -v[132:133]
	v_fma_f64 v[38:39], v[176:177], s[18:19], v[126:127]
	v_add_f64 v[120:121], v[16:17], v[134:135]
	v_add_f64 v[132:133], v[134:135], -v[16:17]
	v_add_f64 v[16:17], v[74:75], v[98:99]
	v_fma_f64 v[144:145], v[128:129], s[6:7], v[130:131]
	v_fma_f64 v[22:23], v[128:129], s[6:7], v[22:23]
	v_fma_f64 v[110:111], v[174:175], s[6:7], v[182:183]
	v_add_f64 v[128:129], v[20:21], v[48:49]
	v_add_f64 v[134:135], v[74:75], v[106:107]
	v_fma_f64 v[138:139], v[138:139], -0.5, v[106:107]
	v_add_f64 v[72:73], v[72:73], -v[96:97]
	v_add_f64 v[174:175], v[20:21], -v[48:49]
	;; [unrolled: 1-line block ×3, first 2 shown]
	v_fma_f64 v[16:17], v[16:17], -0.5, v[106:107]
	v_add_f64 v[122:123], v[144:145], v[38:39]
	v_add_f64 v[130:131], v[22:23], v[18:19]
	v_add_f64 v[150:151], v[144:145], -v[38:39]
	v_add_f64 v[176:177], v[22:23], -v[18:19]
	v_add_f64 v[18:19], v[82:83], v[134:135]
	v_fma_f64 v[22:23], v[72:73], s[8:9], v[138:139]
	v_add_f64 v[38:39], v[74:75], -v[82:83]
	v_add_f64 v[48:49], v[78:79], v[94:95]
	v_add_f64 v[78:79], v[98:99], -v[102:103]
	v_fma_f64 v[80:81], v[72:73], s[14:15], v[138:139]
	v_fma_f64 v[94:95], v[20:21], s[14:15], v[16:17]
	v_add_f64 v[74:75], v[82:83], -v[74:75]
	v_add_f64 v[82:83], v[102:103], -v[98:99]
	v_fma_f64 v[16:17], v[20:21], s[8:9], v[16:17]
	v_fma_f64 v[22:23], v[20:21], s[16:17], v[22:23]
	v_add_f64 v[48:49], v[90:91], v[48:49]
	v_add_f64 v[38:39], v[38:39], v[78:79]
	v_fma_f64 v[20:21], v[20:21], s[2:3], v[80:81]
	v_fma_f64 v[78:79], v[72:73], s[16:17], v[94:95]
	v_add_f64 v[18:19], v[102:103], v[18:19]
	v_add_f64 v[74:75], v[74:75], v[82:83]
	v_fma_f64 v[16:17], v[72:73], s[2:3], v[16:17]
	v_mul_f64 v[72:73], v[194:195], s[16:17]
	v_add_f64 v[48:49], v[86:87], v[48:49]
	v_fma_f64 v[22:23], v[38:39], s[6:7], v[22:23]
	v_fma_f64 v[20:21], v[38:39], s[6:7], v[20:21]
	v_mul_f64 v[86:87], v[190:191], s[6:7]
	v_mul_f64 v[90:91], v[186:187], s[18:19]
	v_fma_f64 v[38:39], v[74:75], s[6:7], v[78:79]
	v_add_f64 v[78:79], v[62:63], v[46:47]
	v_fma_f64 v[82:83], v[92:93], s[18:19], v[72:73]
	v_add_f64 v[92:93], v[54:55], v[28:29]
	v_add_f64 v[94:95], v[26:27], -v[56:57]
	v_add_f64 v[26:27], v[28:29], v[58:59]
	v_add_f64 v[18:19], v[98:99], v[18:19]
	;; [unrolled: 1-line block ×3, first 2 shown]
	v_fma_f64 v[84:85], v[84:85], s[8:9], -v[86:87]
	v_fma_f64 v[78:79], v[78:79], -0.5, v[54:55]
	v_fma_f64 v[86:87], v[76:77], s[16:17], -v[90:91]
	v_add_f64 v[90:91], v[92:93], v[46:47]
	v_add_f64 v[44:45], v[44:45], -v[60:61]
	v_add_f64 v[60:61], v[28:29], -v[46:47]
	;; [unrolled: 1-line block ×3, first 2 shown]
	v_fma_f64 v[26:27], v[26:27], -0.5, v[54:55]
	v_add_f64 v[42:43], v[66:67], v[42:43]
	v_fma_f64 v[92:93], v[94:95], s[8:9], v[78:79]
	v_add_f64 v[70:71], v[48:49], v[18:19]
	v_add_f64 v[56:57], v[18:19], -v[48:49]
	v_add_f64 v[18:19], v[62:63], v[90:91]
	v_fma_f64 v[66:67], v[94:95], s[14:15], v[78:79]
	v_add_f64 v[60:61], v[96:97], v[60:61]
	v_fma_f64 v[78:79], v[44:45], s[14:15], v[26:27]
	v_add_f64 v[28:29], v[46:47], -v[28:29]
	v_fma_f64 v[48:49], v[44:45], s[16:17], v[92:93]
	v_add_f64 v[46:47], v[62:63], -v[58:59]
	v_fma_f64 v[62:63], v[44:45], s[8:9], v[26:27]
	v_add_f64 v[36:37], v[36:37], v[42:43]
	v_mul_f64 v[80:81], v[192:193], s[8:9]
	v_add_f64 v[72:73], v[22:23], v[82:83]
	v_add_f64 v[26:27], v[22:23], -v[82:83]
	v_add_f64 v[18:19], v[58:59], v[18:19]
	v_fma_f64 v[22:23], v[60:61], s[6:7], v[48:49]
	v_fma_f64 v[42:43], v[44:45], s[2:3], v[66:67]
	;; [unrolled: 1-line block ×3, first 2 shown]
	v_add_f64 v[28:29], v[46:47], v[28:29]
	v_fma_f64 v[46:47], v[94:95], s[2:3], v[62:63]
	v_mul_f64 v[48:49], v[198:199], s[8:9]
	v_mul_f64 v[58:59], v[200:201], s[6:7]
	v_add_f64 v[32:33], v[32:33], v[36:37]
	v_mul_f64 v[36:37], v[202:203], s[16:17]
	v_mul_f64 v[62:63], v[196:197], s[18:19]
	v_fma_f64 v[16:17], v[74:75], s[6:7], v[16:17]
	v_fma_f64 v[80:81], v[188:189], s[6:7], v[80:81]
	;; [unrolled: 1-line block ×6, first 2 shown]
	v_fma_f64 v[68:69], v[34:35], s[8:9], -v[58:59]
	v_add_f64 v[24:25], v[24:25], v[32:33]
	v_fma_f64 v[64:65], v[64:65], s[18:19], v[36:37]
	v_fma_f64 v[62:63], v[30:31], s[16:17], -v[62:63]
	v_add_f64 v[126:127], v[152:153], v[110:111]
	v_add_f64 v[152:153], v[152:153], -v[110:111]
	v_add_f64 v[74:75], v[38:39], v[80:81]
	v_add_f64 v[76:77], v[16:17], v[84:85]
	;; [unrolled: 1-line block ×3, first 2 shown]
	v_add_f64 v[28:29], v[38:39], -v[80:81]
	v_add_f64 v[30:31], v[16:17], -v[84:85]
	v_add_f64 v[42:43], v[60:61], v[48:49]
	v_add_f64 v[44:45], v[46:47], v[68:69]
	v_add_f64 v[32:33], v[20:21], -v[86:87]
	v_add_f64 v[34:35], v[18:19], v[24:25]
	v_add_f64 v[36:37], v[22:23], v[64:65]
	;; [unrolled: 1-line block ×3, first 2 shown]
	v_add_f64 v[18:19], v[18:19], -v[24:25]
	v_add_f64 v[58:59], v[22:23], -v[64:65]
	;; [unrolled: 1-line block ×5, first 2 shown]
	s_waitcnt lgkmcnt(0)
	; wave barrier
	s_waitcnt lgkmcnt(0)
	ds_write_b128 v214, v[120:123]
	ds_write_b128 v214, v[126:129] offset:16
	ds_write_b128 v214, v[130:133] offset:32
	ds_write_b128 v214, v[150:153] offset:48
	ds_write_b128 v214, v[174:177] offset:64
	ds_write_b128 v215, v[70:73]
	ds_write_b128 v215, v[74:77] offset:16
	ds_write_b128 v215, v[54:57] offset:32
	ds_write_b128 v215, v[26:29] offset:48
	ds_write_b128 v215, v[30:33] offset:64
	;; [unrolled: 5-line block ×3, first 2 shown]
	s_waitcnt lgkmcnt(0)
	; wave barrier
	s_waitcnt lgkmcnt(0)
	ds_read_b64 v[86:87], v208
	ds_read2_b64 v[82:85], v209 offset0:60 offset1:76
	ds_read2_b64 v[66:69], v209 offset0:92 offset1:120
	;; [unrolled: 1-line block ×8, first 2 shown]
	ds_read2_b64 v[28:31], v217 offset1:16
	ds_read2_b64 v[62:65], v217 offset0:120 offset1:136
	ds_read_b64 v[90:91], v211
	ds_read_b64 v[92:93], v210
	ds_read_b64 v[174:175], v209 offset:3616
                                        ; implicit-def: $vgpr56_vgpr57
                                        ; implicit-def: $vgpr94_vgpr95
	s_and_saveexec_b64 s[2:3], s[0:1]
	s_cbranch_execz .LBB0_17
; %bb.16:
	v_add_u32_e32 v17, 0x400, v209
	ds_read2_b64 v[20:23], v17 offset0:100 offset1:160
	ds_read2_b64 v[32:35], v209 offset0:108 offset1:168
	v_add3_u32 v16, 0, v213, v212
	v_add_u32_e32 v17, 0x800, v209
	ds_read2_b64 v[54:57], v17 offset0:92 offset1:152
	ds_read_b64 v[16:17], v16
	ds_read_b64 v[94:95], v209 offset:3744
	s_waitcnt lgkmcnt(4)
	v_mov_b32_e32 v61, v21
	v_mov_b32_e32 v60, v20
	;; [unrolled: 1-line block ×3, first 2 shown]
	s_waitcnt lgkmcnt(3)
	v_mov_b32_e32 v18, v32
	v_mov_b32_e32 v21, v23
	s_waitcnt lgkmcnt(2)
	v_mov_b32_e32 v22, v54
	v_mov_b32_e32 v59, v35
	;; [unrolled: 1-line block ×5, first 2 shown]
.LBB0_17:
	s_or_b64 exec, exec, s[2:3]
	v_add_u32_e32 v32, -10, v204
	v_cmp_gt_u32_e64 s[2:3], 10, v204
	v_cndmask_b32_e64 v176, v32, v204, s[2:3]
	v_mul_i32_i24_e32 v32, 7, v176
	v_mov_b32_e32 v33, 0
	v_lshlrev_b64 v[32:33], 4, v[32:33]
	s_mov_b32 s7, 0xbfe6a09e
	v_add_co_u32_e64 v96, s[2:3], s12, v32
	v_mov_b32_e32 v32, s13
	v_addc_co_u32_e64 v97, s[2:3], v32, v33, s[2:3]
	global_load_dwordx4 v[32:35], v[96:97], off offset:48
	global_load_dwordx4 v[36:39], v[96:97], off offset:32
	;; [unrolled: 1-line block ×3, first 2 shown]
	global_load_dwordx4 v[100:103], v[96:97], off
	s_movk_i32 s2, 0xcd
	s_waitcnt vmcnt(0) lgkmcnt(12)
	v_mul_f64 v[54:55], v[82:83], v[102:103]
	v_fma_f64 v[98:99], v[166:167], v[100:101], -v[54:55]
	v_mul_f64 v[54:55], v[166:167], v[102:103]
	v_fma_f64 v[100:101], v[82:83], v[100:101], v[54:55]
	s_waitcnt lgkmcnt(11)
	v_mul_f64 v[54:55], v[68:69], v[128:129]
	v_fma_f64 v[120:121], v[142:143], v[126:127], -v[54:55]
	v_mul_f64 v[54:55], v[142:143], v[128:129]
	v_fma_f64 v[54:55], v[68:69], v[126:127], v[54:55]
	s_waitcnt lgkmcnt(10)
	v_mul_f64 v[68:69], v[78:79], v[38:39]
	v_mul_f64 v[38:39], v[162:163], v[38:39]
	v_fma_f64 v[82:83], v[162:163], v[36:37], -v[68:69]
	v_fma_f64 v[78:79], v[78:79], v[36:37], v[38:39]
	s_waitcnt lgkmcnt(9)
	v_mul_f64 v[36:37], v[26:27], v[34:35]
	v_fma_f64 v[128:129], v[10:11], v[32:33], -v[36:37]
	global_load_dwordx4 v[36:39], v[96:97], off offset:96
	global_load_dwordx4 v[132:135], v[96:97], off offset:80
	;; [unrolled: 1-line block ×3, first 2 shown]
	s_waitcnt vmcnt(0) lgkmcnt(8)
	v_mul_f64 v[68:69], v[74:75], v[144:145]
	v_fma_f64 v[122:123], v[158:159], v[142:143], -v[68:69]
	v_mul_f64 v[68:69], v[158:159], v[144:145]
	v_fma_f64 v[126:127], v[74:75], v[142:143], v[68:69]
	s_waitcnt lgkmcnt(7)
	v_mul_f64 v[68:69], v[48:49], v[134:135]
	v_fma_f64 v[130:131], v[114:115], v[132:133], -v[68:69]
	v_mul_f64 v[68:69], v[114:115], v[134:135]
	v_fma_f64 v[132:133], v[48:49], v[132:133], v[68:69]
	s_waitcnt lgkmcnt(6)
	v_mul_f64 v[48:49], v[42:43], v[38:39]
	v_mul_f64 v[38:39], v[154:155], v[38:39]
	v_fma_f64 v[106:107], v[154:155], v[36:37], -v[48:49]
	v_fma_f64 v[110:111], v[42:43], v[36:37], v[38:39]
	v_mul_lo_u16_sdwa v36, v205, s2 dst_sel:DWORD dst_unused:UNUSED_PAD src0_sel:BYTE_0 src1_sel:DWORD
	v_lshrrev_b16_e32 v166, 11, v36
	v_mul_lo_u16_e32 v36, 10, v166
	v_sub_u16_e32 v167, v205, v36
	v_mul_lo_u16_e32 v36, 7, v167
	v_mov_b32_e32 v37, 4
	v_lshlrev_b32_sdwa v48, v37, v36 dst_sel:DWORD dst_unused:UNUSED_PAD src0_sel:DWORD src1_sel:BYTE_0
	global_load_dwordx4 v[36:39], v48, s[12:13] offset:48
	global_load_dwordx4 v[142:145], v48, s[12:13] offset:32
	;; [unrolled: 1-line block ×3, first 2 shown]
	global_load_dwordx4 v[177:180], v48, s[12:13]
	s_waitcnt vmcnt(0)
	v_mul_f64 v[42:43], v[84:85], v[179:180]
	v_fma_f64 v[96:97], v[168:169], v[177:178], -v[42:43]
	v_mul_f64 v[42:43], v[168:169], v[179:180]
	v_fma_f64 v[84:85], v[84:85], v[177:178], v[42:43]
	s_waitcnt lgkmcnt(5)
	v_mul_f64 v[42:43], v[70:71], v[152:153]
	v_fma_f64 v[102:103], v[146:147], v[150:151], -v[42:43]
	v_mul_f64 v[42:43], v[146:147], v[152:153]
	v_fma_f64 v[68:69], v[70:71], v[150:151], v[42:43]
	v_mul_f64 v[42:43], v[80:81], v[144:145]
	v_fma_f64 v[70:71], v[164:165], v[142:143], -v[42:43]
	v_mul_f64 v[42:43], v[164:165], v[144:145]
	v_fma_f64 v[74:75], v[80:81], v[142:143], v[42:43]
	global_load_dwordx4 v[142:145], v48, s[12:13] offset:96
	global_load_dwordx4 v[162:165], v48, s[12:13] offset:80
	;; [unrolled: 1-line block ×3, first 2 shown]
	s_waitcnt lgkmcnt(4)
	v_mul_f64 v[42:43], v[28:29], v[38:39]
	v_fma_f64 v[80:81], v[12:13], v[36:37], -v[42:43]
	s_waitcnt vmcnt(0)
	v_mul_f64 v[42:43], v[76:77], v[179:180]
	v_fma_f64 v[152:153], v[160:161], v[177:178], -v[42:43]
	v_mul_f64 v[42:43], v[160:161], v[179:180]
	v_fma_f64 v[154:155], v[76:77], v[177:178], v[42:43]
	s_waitcnt lgkmcnt(3)
	v_mul_f64 v[42:43], v[62:63], v[164:165]
	v_fma_f64 v[158:159], v[116:117], v[162:163], -v[42:43]
	v_mul_f64 v[42:43], v[116:117], v[164:165]
	v_fma_f64 v[160:161], v[62:63], v[162:163], v[42:43]
	v_mul_f64 v[42:43], v[44:45], v[144:145]
	v_fma_f64 v[146:147], v[156:157], v[142:143], -v[42:43]
	v_mul_f64 v[42:43], v[156:157], v[144:145]
	v_mov_b32_e32 v156, 7
	v_add_f64 v[146:147], v[70:71], -v[146:147]
	v_fma_f64 v[150:151], v[44:45], v[142:143], v[42:43]
	v_mul_lo_u16_sdwa v42, v207, s2 dst_sel:DWORD dst_unused:UNUSED_PAD src0_sel:BYTE_0 src1_sel:DWORD
	v_lshrrev_b16_e32 v168, 11, v42
	v_mul_lo_u16_e32 v42, 10, v168
	v_sub_u16_e32 v169, v207, v42
	v_mul_u32_u24_sdwa v42, v169, v156 dst_sel:DWORD dst_unused:UNUSED_PAD src0_sel:BYTE_0 src1_sel:DWORD
	v_lshlrev_b32_e32 v138, 4, v42
	global_load_dwordx4 v[42:45], v138, s[12:13] offset:48
	global_load_dwordx4 v[142:145], v138, s[12:13] offset:32
	;; [unrolled: 1-line block ×3, first 2 shown]
	global_load_dwordx4 v[114:117], v138, s[12:13]
	v_add_f64 v[150:151], v[74:75], -v[150:151]
	v_fma_f64 v[70:71], v[70:71], 2.0, -v[146:147]
	v_fma_f64 v[74:75], v[74:75], 2.0, -v[150:151]
	s_waitcnt vmcnt(0)
	v_mul_f64 v[48:49], v[66:67], v[116:117]
	v_fma_f64 v[76:77], v[140:141], v[114:115], -v[48:49]
	v_mul_f64 v[48:49], v[140:141], v[116:117]
	v_fma_f64 v[114:115], v[66:67], v[114:115], v[48:49]
	v_mul_f64 v[48:49], v[72:73], v[164:165]
	v_fma_f64 v[116:117], v[148:149], v[162:163], -v[48:49]
	v_mul_f64 v[48:49], v[148:149], v[164:165]
	v_fma_f64 v[62:63], v[72:73], v[162:163], v[48:49]
	;; [unrolled: 4-line block ×3, first 2 shown]
	global_load_dwordx4 v[162:165], v138, s[12:13] offset:96
	global_load_dwordx4 v[177:180], v138, s[12:13] offset:80
	;; [unrolled: 1-line block ×3, first 2 shown]
	v_mul_f64 v[24:25], v[30:31], v[44:45]
	v_fma_f64 v[134:135], v[14:15], v[42:43], -v[24:25]
	s_waitcnt vmcnt(0)
	v_mul_f64 v[24:25], v[46:47], v[142:143]
	v_fma_f64 v[138:139], v[112:113], v[140:141], -v[24:25]
	v_mul_f64 v[24:25], v[112:113], v[142:143]
	v_add_f64 v[138:139], v[76:77], -v[138:139]
	v_fma_f64 v[140:141], v[46:47], v[140:141], v[24:25]
	v_mul_f64 v[24:25], v[64:65], v[179:180]
	v_add_f64 v[140:141], v[114:115], -v[140:141]
	v_fma_f64 v[142:143], v[118:119], v[177:178], -v[24:25]
	v_mul_f64 v[24:25], v[118:119], v[179:180]
	v_fma_f64 v[144:145], v[64:65], v[177:178], v[24:25]
	s_waitcnt lgkmcnt(0)
	v_mul_f64 v[24:25], v[174:175], v[164:165]
	v_fma_f64 v[118:119], v[136:137], v[162:163], -v[24:25]
	v_mul_f64 v[24:25], v[136:137], v[164:165]
	v_fma_f64 v[112:113], v[174:175], v[162:163], v[24:25]
	v_mul_lo_u16_sdwa v24, v206, s2 dst_sel:DWORD dst_unused:UNUSED_PAD src0_sel:BYTE_0 src1_sel:DWORD
	v_lshrrev_b16_e32 v174, 11, v24
	v_mul_lo_u16_e32 v24, 10, v174
	v_sub_u16_e32 v175, v206, v24
	v_mul_u32_u24_sdwa v24, v175, v156 dst_sel:DWORD dst_unused:UNUSED_PAD src0_sel:BYTE_0 src1_sel:DWORD
	v_lshlrev_b32_e32 v136, 4, v24
	global_load_dwordx4 v[46:49], v136, s[12:13] offset:48
	global_load_dwordx4 v[162:165], v136, s[12:13] offset:32
	;; [unrolled: 1-line block ×3, first 2 shown]
	global_load_dwordx4 v[181:184], v136, s[12:13]
	s_mov_b32 s2, 0x667f3bcd
	s_mov_b32 s3, 0x3fe6a09e
	;; [unrolled: 1-line block ×3, first 2 shown]
	v_add_f64 v[112:113], v[8:9], -v[112:113]
	s_waitcnt vmcnt(0)
	v_mul_f64 v[24:25], v[18:19], v[183:184]
	v_fma_f64 v[64:65], v[6:7], v[181:182], -v[24:25]
	v_mul_f64 v[6:7], v[6:7], v[183:184]
	v_mul_f64 v[24:25], v[60:61], v[164:165]
	v_fma_f64 v[72:73], v[18:19], v[181:182], v[6:7]
	v_mul_f64 v[6:7], v[58:59], v[179:180]
	v_mul_f64 v[18:19], v[50:51], v[179:180]
	v_fma_f64 v[24:25], v[52:53], v[162:163], -v[24:25]
	v_fma_f64 v[6:7], v[50:51], v[177:178], -v[6:7]
	v_mul_f64 v[50:51], v[52:53], v[164:165]
	v_fma_f64 v[18:19], v[58:59], v[177:178], v[18:19]
	v_fma_f64 v[50:51], v[60:61], v[162:163], v[50:51]
	global_load_dwordx4 v[58:61], v136, s[12:13] offset:96
	global_load_dwordx4 v[177:180], v136, s[12:13] offset:80
	;; [unrolled: 1-line block ×3, first 2 shown]
	s_waitcnt lgkmcnt(0)
	; wave barrier
	s_waitcnt vmcnt(0)
	v_mul_f64 v[52:53], v[22:23], v[164:165]
	v_fma_f64 v[136:137], v[2:3], v[162:163], -v[52:53]
	v_mul_f64 v[2:3], v[2:3], v[164:165]
	v_add_f64 v[52:53], v[108:109], -v[128:129]
	v_add_f64 v[128:129], v[104:105], -v[80:81]
	v_add_f64 v[80:81], v[102:103], -v[158:159]
	v_add_f64 v[136:137], v[64:65], -v[136:137]
	v_fma_f64 v[148:149], v[22:23], v[162:163], v[2:3]
	v_mul_f64 v[2:3], v[56:57], v[179:180]
	v_fma_f64 v[104:105], v[104:105], 2.0, -v[128:129]
	v_fma_f64 v[102:103], v[102:103], 2.0, -v[80:81]
	;; [unrolled: 1-line block ×3, first 2 shown]
	v_fma_f64 v[162:163], v[40:41], v[177:178], -v[2:3]
	v_mul_f64 v[2:3], v[40:41], v[179:180]
	v_add_f64 v[40:41], v[54:55], -v[132:133]
	v_add_f64 v[132:133], v[84:85], -v[154:155]
	v_fma_f64 v[164:165], v[56:57], v[177:178], v[2:3]
	v_mul_f64 v[2:3], v[94:95], v[60:61]
	v_fma_f64 v[56:57], v[108:109], 2.0, -v[52:53]
	v_add_f64 v[108:109], v[98:99], -v[122:123]
	v_add_f64 v[146:147], v[132:133], v[146:147]
	v_fma_f64 v[84:85], v[84:85], 2.0, -v[132:133]
	v_fma_f64 v[156:157], v[124:125], v[58:59], -v[2:3]
	v_mul_f64 v[2:3], v[124:125], v[60:61]
	v_fma_f64 v[98:99], v[98:99], 2.0, -v[108:109]
	v_add_f64 v[74:75], v[84:85], -v[74:75]
	v_fma_f64 v[94:95], v[94:95], v[58:59], v[2:3]
	v_add_f64 v[2:3], v[120:121], -v[130:131]
	v_add_f64 v[130:131], v[96:97], -v[152:153]
	;; [unrolled: 1-line block ×4, first 2 shown]
	v_fma_f64 v[58:59], v[120:121], 2.0, -v[2:3]
	v_add_f64 v[120:121], v[100:101], -v[126:127]
	v_add_f64 v[126:127], v[52:53], -v[40:41]
	v_fma_f64 v[96:97], v[96:97], 2.0, -v[130:131]
	v_add_f64 v[150:151], v[130:131], -v[150:151]
	v_fma_f64 v[102:103], v[104:105], 2.0, -v[152:153]
	;; [unrolled: 2-line block ×3, first 2 shown]
	v_fma_f64 v[22:23], v[100:101], 2.0, -v[120:121]
	v_add_f64 v[100:101], v[82:83], -v[106:107]
	v_add_f64 v[106:107], v[78:79], -v[110:111]
	v_fma_f64 v[110:111], v[52:53], 2.0, -v[126:127]
	v_add_f64 v[70:71], v[96:97], -v[70:71]
	v_fma_f64 v[152:153], v[152:153], 2.0, -v[181:182]
	v_fma_f64 v[60:61], v[82:83], 2.0, -v[100:101]
	v_add_f64 v[82:83], v[56:57], -v[58:59]
	v_fma_f64 v[78:79], v[78:79], 2.0, -v[106:107]
	v_add_f64 v[124:125], v[120:121], v[100:101]
	v_fma_f64 v[96:97], v[96:97], 2.0, -v[70:71]
	v_add_f64 v[52:53], v[98:99], -v[60:61]
	v_fma_f64 v[56:57], v[56:57], 2.0, -v[82:83]
	v_add_f64 v[60:61], v[22:23], -v[78:79]
	v_add_f64 v[158:159], v[102:103], -v[96:97]
	v_fma_f64 v[58:59], v[98:99], 2.0, -v[52:53]
	v_add_f64 v[98:99], v[108:109], -v[106:107]
	v_add_f64 v[100:101], v[56:57], -v[58:59]
	v_fma_f64 v[78:79], v[108:109], 2.0, -v[98:99]
	v_fma_f64 v[108:109], v[120:121], 2.0, -v[124:125]
	;; [unrolled: 1-line block ×3, first 2 shown]
	v_mul_f64 v[56:57], v[78:79], s[2:3]
	v_fma_f64 v[78:79], v[78:79], s[6:7], v[110:111]
	v_mul_f64 v[58:59], v[108:109], s[2:3]
	v_fma_f64 v[108:109], v[108:109], s[6:7], v[78:79]
	v_mul_f64 v[78:79], v[98:99], s[2:3]
	v_fma_f64 v[98:99], v[98:99], s[2:3], v[126:127]
	v_fma_f64 v[120:121], v[110:111], 2.0, -v[108:109]
	v_add_f64 v[110:111], v[82:83], -v[60:61]
	v_fma_f64 v[122:123], v[82:83], 2.0, -v[110:111]
	v_mul_f64 v[82:83], v[124:125], s[2:3]
	v_fma_f64 v[124:125], v[124:125], s[6:7], v[98:99]
	v_add_f64 v[98:99], v[68:69], -v[160:161]
	v_fma_f64 v[160:161], v[102:103], 2.0, -v[158:159]
	v_fma_f64 v[126:127], v[126:127], 2.0, -v[124:125]
	v_add_f64 v[154:155], v[128:129], -v[98:99]
	v_fma_f64 v[104:105], v[128:129], 2.0, -v[154:155]
	v_fma_f64 v[128:129], v[130:131], 2.0, -v[150:151]
	;; [unrolled: 1-line block ×3, first 2 shown]
	v_add_f64 v[132:133], v[88:89], -v[134:135]
	v_mul_f64 v[96:97], v[128:129], s[2:3]
	v_fma_f64 v[128:129], v[128:129], s[6:7], v[104:105]
	v_fma_f64 v[134:135], v[88:89], 2.0, -v[132:133]
	v_add_f64 v[88:89], v[116:117], -v[142:143]
	v_fma_f64 v[142:143], v[76:77], 2.0, -v[138:139]
	v_fma_f64 v[76:77], v[114:115], 2.0, -v[140:141]
	v_add_f64 v[114:115], v[66:67], -v[118:119]
	v_mul_f64 v[102:103], v[130:131], s[2:3]
	v_fma_f64 v[118:119], v[8:9], 2.0, -v[112:113]
	v_fma_f64 v[177:178], v[130:131], s[6:7], v[128:129]
	v_fma_f64 v[130:131], v[150:151], s[2:3], v[154:155]
	v_fma_f64 v[116:117], v[116:117], 2.0, -v[88:89]
	v_add_f64 v[112:113], v[138:139], -v[112:113]
	v_mul_f64 v[128:129], v[146:147], s[2:3]
	v_fma_f64 v[66:67], v[66:67], 2.0, -v[114:115]
	v_add_f64 v[114:115], v[140:141], v[114:115]
	v_fma_f64 v[179:180], v[104:105], 2.0, -v[177:178]
	v_mul_f64 v[104:105], v[150:151], s[2:3]
	v_fma_f64 v[150:151], v[146:147], s[6:7], v[130:131]
	v_add_f64 v[130:131], v[62:63], -v[144:145]
	v_add_f64 v[144:145], v[134:135], -v[116:117]
	;; [unrolled: 1-line block ×4, first 2 shown]
	v_fma_f64 v[138:139], v[138:139], 2.0, -v[112:113]
	v_fma_f64 v[140:141], v[140:141], 2.0, -v[114:115]
	;; [unrolled: 1-line block ×4, first 2 shown]
	v_add_f64 v[134:135], v[132:133], -v[130:131]
	v_fma_f64 v[118:119], v[142:143], 2.0, -v[8:9]
	v_add_f64 v[142:143], v[72:73], -v[148:149]
	v_add_f64 v[191:192], v[144:145], -v[66:67]
	v_fma_f64 v[146:147], v[132:133], 2.0, -v[134:135]
	v_add_f64 v[183:184], v[116:117], -v[118:119]
	v_mul_f64 v[132:133], v[140:141], s[2:3]
	v_fma_f64 v[193:194], v[144:145], 2.0, -v[191:192]
	v_fma_f64 v[118:119], v[138:139], s[6:7], v[146:147]
	v_fma_f64 v[185:186], v[116:117], 2.0, -v[183:184]
	v_mul_f64 v[116:117], v[138:139], s[2:3]
	v_mul_f64 v[138:139], v[112:113], s[2:3]
	v_fma_f64 v[112:113], v[112:113], s[2:3], v[134:135]
	v_fma_f64 v[187:188], v[140:141], s[6:7], v[118:119]
	v_fma_f64 v[118:119], v[72:73], 2.0, -v[142:143]
	v_add_f64 v[72:73], v[24:25], -v[156:157]
	v_mul_f64 v[140:141], v[114:115], s[2:3]
	v_fma_f64 v[195:196], v[114:115], s[6:7], v[112:113]
	v_add_f64 v[112:113], v[6:7], -v[162:163]
	v_add_f64 v[114:115], v[18:19], -v[164:165]
	v_fma_f64 v[189:190], v[146:147], 2.0, -v[187:188]
	v_fma_f64 v[24:25], v[24:25], 2.0, -v[72:73]
	v_add_f64 v[72:73], v[142:143], v[72:73]
	v_fma_f64 v[197:198], v[134:135], 2.0, -v[195:196]
	v_add_f64 v[134:135], v[118:119], -v[50:51]
	v_add_f64 v[50:51], v[136:137], -v[94:95]
	;; [unrolled: 1-line block ×3, first 2 shown]
	v_fma_f64 v[142:143], v[142:143], 2.0, -v[72:73]
	v_mul_f64 v[146:147], v[72:73], s[2:3]
	v_fma_f64 v[94:95], v[136:137], 2.0, -v[50:51]
	v_mul_f64 v[144:145], v[142:143], s[2:3]
	v_mul_f64 v[142:143], v[50:51], s[2:3]
	v_mov_b32_e32 v50, 0x50
	v_mul_f64 v[136:137], v[94:95], s[2:3]
	v_cmp_lt_u32_e64 s[2:3], 9, v204
	v_cndmask_b32_e64 v50, 0, v50, s[2:3]
	v_or_b32_e32 v50, v50, v176
	v_lshlrev_b32_e32 v50, 3, v50
	v_add3_u32 v148, 0, v50, v212
	v_mul_lo_u16_e32 v50, 0x50, v166
	v_or_b32_e32 v50, v50, v167
	v_mov_b32_e32 v51, 3
	v_lshlrev_b32_sdwa v50, v51, v50 dst_sel:DWORD dst_unused:UNUSED_PAD src0_sel:DWORD src1_sel:BYTE_0
	ds_write2_b64 v148, v[106:107], v[120:121] offset1:10
	ds_write2_b64 v148, v[122:123], v[126:127] offset0:20 offset1:30
	ds_write2_b64 v148, v[100:101], v[108:109] offset0:40 offset1:50
	;; [unrolled: 1-line block ×3, first 2 shown]
	v_add3_u32 v100, 0, v50, v212
	v_mul_u32_u24_e32 v50, 0x50, v168
	v_or_b32_sdwa v50, v50, v169 dst_sel:DWORD dst_unused:UNUSED_PAD src0_sel:DWORD src1_sel:BYTE_0
	v_lshlrev_b32_e32 v50, 3, v50
	v_add3_u32 v101, 0, v50, v212
	ds_write2_b64 v100, v[160:161], v[179:180] offset1:10
	ds_write2_b64 v100, v[152:153], v[154:155] offset0:20 offset1:30
	ds_write2_b64 v100, v[158:159], v[177:178] offset0:40 offset1:50
	;; [unrolled: 1-line block ×3, first 2 shown]
	ds_write2_b64 v101, v[185:186], v[189:190] offset1:10
	ds_write2_b64 v101, v[193:194], v[197:198] offset0:20 offset1:30
	ds_write2_b64 v101, v[183:184], v[187:188] offset0:40 offset1:50
	;; [unrolled: 1-line block ×3, first 2 shown]
	s_and_saveexec_b64 s[2:3], s[0:1]
	s_cbranch_execz .LBB0_19
; %bb.18:
	v_mul_f64 v[50:51], v[20:21], v[48:49]
	v_fma_f64 v[6:7], v[6:7], 2.0, -v[112:113]
	v_fma_f64 v[64:65], v[64:65], 2.0, -v[24:25]
	v_mul_u32_u24_e32 v110, 0x50, v174
	v_or_b32_sdwa v110, v110, v175 dst_sel:DWORD dst_unused:UNUSED_PAD src0_sel:DWORD src1_sel:BYTE_0
	v_lshlrev_b32_e32 v110, 3, v110
	v_add3_u32 v110, 0, v110, v212
	v_fma_f64 v[50:51], v[0:1], v[46:47], -v[50:51]
	v_add_f64 v[50:51], v[4:5], -v[50:51]
	v_add_f64 v[72:73], v[50:51], -v[114:115]
	v_fma_f64 v[4:5], v[4:5], 2.0, -v[50:51]
	v_fma_f64 v[50:51], v[50:51], 2.0, -v[72:73]
	v_add_f64 v[6:7], v[4:5], -v[6:7]
	v_add_f64 v[94:95], v[72:73], v[142:143]
	v_add_f64 v[106:107], v[50:51], -v[136:137]
	v_fma_f64 v[4:5], v[4:5], 2.0, -v[6:7]
	v_add_f64 v[94:95], v[94:95], -v[146:147]
	v_add_f64 v[108:109], v[6:7], -v[134:135]
	v_add_f64 v[106:107], v[106:107], -v[144:145]
	v_add_f64 v[64:65], v[4:5], -v[64:65]
	v_fma_f64 v[72:73], v[72:73], 2.0, -v[94:95]
	v_fma_f64 v[6:7], v[6:7], 2.0, -v[108:109]
	;; [unrolled: 1-line block ×4, first 2 shown]
	ds_write2_b64 v110, v[6:7], v[72:73] offset0:20 offset1:30
	ds_write2_b64 v110, v[64:65], v[106:107] offset0:40 offset1:50
	ds_write2_b64 v110, v[4:5], v[50:51] offset1:10
	ds_write2_b64 v110, v[108:109], v[94:95] offset0:60 offset1:70
.LBB0_19:
	s_or_b64 exec, exec, s[2:3]
	v_mul_f64 v[4:5], v[10:11], v[34:35]
	v_mul_f64 v[6:7], v[12:13], v[38:39]
	;; [unrolled: 1-line block ×3, first 2 shown]
	v_fma_f64 v[12:13], v[54:55], 2.0, -v[40:41]
	v_fma_f64 v[14:15], v[22:23], 2.0, -v[60:61]
	;; [unrolled: 1-line block ×3, first 2 shown]
	s_waitcnt lgkmcnt(0)
	; wave barrier
	s_waitcnt lgkmcnt(0)
	v_fma_f64 v[4:5], v[26:27], v[32:33], v[4:5]
	v_fma_f64 v[6:7], v[28:29], v[36:37], v[6:7]
	;; [unrolled: 1-line block ×3, first 2 shown]
	v_fma_f64 v[30:31], v[62:63], 2.0, -v[130:131]
	v_fma_f64 v[26:27], v[84:85], 2.0, -v[74:75]
	;; [unrolled: 1-line block ×3, first 2 shown]
	v_add_f64 v[4:5], v[86:87], -v[4:5]
	v_add_f64 v[6:7], v[92:93], -v[6:7]
	;; [unrolled: 1-line block ×3, first 2 shown]
	v_fma_f64 v[28:29], v[86:87], 2.0, -v[4:5]
	v_add_f64 v[34:35], v[6:7], v[80:81]
	v_add_f64 v[40:41], v[10:11], v[88:89]
	;; [unrolled: 1-line block ×3, first 2 shown]
	v_fma_f64 v[32:33], v[92:93], 2.0, -v[6:7]
	v_fma_f64 v[38:39], v[90:91], 2.0, -v[10:11]
	v_add_f64 v[12:13], v[28:29], -v[12:13]
	v_add_f64 v[44:45], v[34:35], v[128:129]
	v_fma_f64 v[10:11], v[10:11], 2.0, -v[40:41]
	v_fma_f64 v[4:5], v[4:5], 2.0, -v[2:3]
	v_add_f64 v[42:43], v[2:3], v[82:83]
	v_add_f64 v[22:23], v[32:33], -v[22:23]
	v_fma_f64 v[6:7], v[6:7], 2.0, -v[34:35]
	v_add_f64 v[30:31], v[38:39], -v[30:31]
	v_add_f64 v[50:51], v[40:41], v[140:141]
	v_add_f64 v[80:81], v[104:105], v[44:45]
	v_add_f64 v[44:45], v[10:11], -v[132:133]
	v_fma_f64 v[28:29], v[28:29], 2.0, -v[12:13]
	v_add_f64 v[54:55], v[4:5], -v[58:59]
	v_add_f64 v[76:77], v[78:79], v[42:43]
	v_fma_f64 v[32:33], v[32:33], 2.0, -v[22:23]
	v_add_f64 v[42:43], v[6:7], -v[102:103]
	v_fma_f64 v[38:39], v[38:39], 2.0, -v[30:31]
	v_add_f64 v[74:75], v[12:13], v[52:53]
	v_add_f64 v[106:107], v[116:117], v[44:45]
	;; [unrolled: 1-line block ×4, first 2 shown]
	v_add_f64 v[14:15], v[28:29], -v[14:15]
	v_add_f64 v[86:87], v[56:57], v[54:55]
	v_add_f64 v[102:103], v[32:33], -v[26:27]
	v_add_f64 v[96:97], v[96:97], v[42:43]
	v_add_f64 v[104:105], v[38:39], -v[36:37]
	v_add_f64 v[78:79], v[22:23], v[70:71]
	v_fma_f64 v[126:127], v[10:11], 2.0, -v[106:107]
	v_add_u32_e32 v10, 0x800, v209
	v_fma_f64 v[88:89], v[12:13], 2.0, -v[74:75]
	v_fma_f64 v[98:99], v[2:3], 2.0, -v[76:77]
	;; [unrolled: 1-line block ×10, first 2 shown]
	ds_read2_b64 v[40:43], v209 offset0:64 offset1:80
	ds_read2_b64 v[32:35], v209 offset0:160 offset1:176
	;; [unrolled: 1-line block ×6, first 2 shown]
	ds_read2_b64 v[66:69], v10 offset1:16
	ds_read2_b64 v[62:65], v10 offset0:160 offset1:176
	ds_read2_b64 v[28:31], v209 offset0:192 offset1:208
	;; [unrolled: 1-line block ×3, first 2 shown]
	v_add3_u32 v26, 0, v213, v212
	ds_read_b64 v[90:91], v208
	ds_read_b64 v[92:93], v210
	;; [unrolled: 1-line block ×4, first 2 shown]
	ds_read2_b64 v[2:5], v209 offset0:128 offset1:144
	ds_read2_b64 v[6:9], v10 offset0:32 offset1:48
	ds_read2_b64 v[10:13], v10 offset0:192 offset1:208
	v_fma_f64 v[22:23], v[22:23], 2.0, -v[78:79]
	s_waitcnt lgkmcnt(0)
	; wave barrier
	s_waitcnt lgkmcnt(0)
	ds_write2_b64 v148, v[110:111], v[116:117] offset1:10
	ds_write2_b64 v148, v[88:89], v[98:99] offset0:20 offset1:30
	ds_write2_b64 v148, v[14:15], v[86:87] offset0:40 offset1:50
	ds_write2_b64 v148, v[74:75], v[76:77] offset0:60 offset1:70
	ds_write2_b64 v100, v[120:121], v[122:123] offset1:10
	ds_write2_b64 v100, v[22:23], v[108:109] offset0:20 offset1:30
	ds_write2_b64 v100, v[102:103], v[96:97] offset0:40 offset1:50
	ds_write2_b64 v100, v[78:79], v[80:81] offset0:60 offset1:70
	;; [unrolled: 4-line block ×3, first 2 shown]
	s_and_saveexec_b64 s[2:3], s[0:1]
	s_cbranch_execz .LBB0_21
; %bb.20:
	v_mul_f64 v[0:1], v[0:1], v[48:49]
	v_fma_f64 v[14:15], v[18:19], 2.0, -v[114:115]
	v_mul_u32_u24_e32 v27, 0x50, v174
	v_or_b32_sdwa v27, v27, v175 dst_sel:DWORD dst_unused:UNUSED_PAD src0_sel:DWORD src1_sel:BYTE_0
	v_lshlrev_b32_e32 v27, 3, v27
	v_add3_u32 v27, 0, v27, v212
	v_fma_f64 v[0:1], v[20:21], v[46:47], v[0:1]
	v_fma_f64 v[20:21], v[118:119], 2.0, -v[134:135]
	v_add_f64 v[0:1], v[16:17], -v[0:1]
	v_fma_f64 v[16:17], v[16:17], 2.0, -v[0:1]
	v_add_f64 v[18:19], v[0:1], v[112:113]
	v_add_f64 v[14:15], v[16:17], -v[14:15]
	v_fma_f64 v[0:1], v[0:1], 2.0, -v[18:19]
	v_add_f64 v[22:23], v[18:19], v[146:147]
	v_fma_f64 v[16:17], v[16:17], 2.0, -v[14:15]
	v_add_f64 v[46:47], v[0:1], -v[144:145]
	v_add_f64 v[24:25], v[14:15], v[24:25]
	v_add_f64 v[22:23], v[142:143], v[22:23]
	v_add_f64 v[20:21], v[16:17], -v[20:21]
	v_add_f64 v[46:47], v[136:137], v[46:47]
	v_fma_f64 v[14:15], v[14:15], 2.0, -v[24:25]
	v_fma_f64 v[18:19], v[18:19], 2.0, -v[22:23]
	;; [unrolled: 1-line block ×4, first 2 shown]
	ds_write2_b64 v27, v[14:15], v[18:19] offset0:20 offset1:30
	ds_write2_b64 v27, v[20:21], v[46:47] offset0:40 offset1:50
	ds_write2_b64 v27, v[16:17], v[0:1] offset1:10
	ds_write2_b64 v27, v[24:25], v[22:23] offset0:60 offset1:70
.LBB0_21:
	s_or_b64 exec, exec, s[2:3]
	s_waitcnt lgkmcnt(0)
	; wave barrier
	s_waitcnt lgkmcnt(0)
	s_and_saveexec_b64 s[0:1], vcc
	s_cbranch_execz .LBB0_23
; %bb.22:
	v_or_b32_e32 v0, 64, v204
	v_mul_u32_u24_e32 v0, 5, v0
	v_lshlrev_b32_e32 v0, 4, v0
	global_load_dwordx4 v[14:17], v0, s[12:13] offset:1168
	global_load_dwordx4 v[18:21], v0, s[12:13] offset:1152
	;; [unrolled: 1-line block ×5, first 2 shown]
	v_mul_i32_i24_e32 v159, 5, v206
	v_mov_b32_e32 v160, 0
	v_lshlrev_b64 v[0:1], 4, v[159:160]
	v_mov_b32_e32 v169, s13
	v_add_co_u32_e32 v0, vcc, s12, v0
	v_addc_co_u32_e32 v1, vcc, v169, v1, vcc
	global_load_dwordx4 v[99:102], v[0:1], off offset:1136
	global_load_dwordx4 v[103:106], v[0:1], off offset:1168
	;; [unrolled: 1-line block ×5, first 2 shown]
	ds_read2_b64 v[78:81], v209 offset0:224 offset1:240
	v_add_u32_e32 v98, 0x800, v209
	ds_read2_b64 v[74:77], v209 offset0:64 offset1:80
	ds_read2_b64 v[119:122], v209 offset0:128 offset1:144
	;; [unrolled: 1-line block ×6, first 2 shown]
	v_mul_i32_i24_e32 v159, 5, v207
	v_mul_lo_u32 v27, s5, v172
	v_mul_lo_u32 v139, s4, v173
	v_mad_u64_u32 v[96:97], s[0:1], s4, v172, 0
	v_lshlrev_b64 v[0:1], 4, v[159:160]
	ds_read2_b64 v[135:138], v98 offset0:96 offset1:112
	v_add_co_u32_e32 v0, vcc, s12, v0
	v_addc_co_u32_e32 v1, vcc, v169, v1, vcc
	v_add3_u32 v97, v97, v139, v27
	global_load_dwordx4 v[139:142], v[0:1], off offset:1168
	global_load_dwordx4 v[143:146], v[0:1], off offset:1152
	;; [unrolled: 1-line block ×5, first 2 shown]
	s_mov_b32 s0, 0xe8584caa
	s_mov_b32 s1, 0x3febb67a
	;; [unrolled: 1-line block ×4, first 2 shown]
	ds_read_b64 v[26:27], v26
	v_mul_i32_i24_e32 v159, 5, v205
	s_waitcnt vmcnt(14) lgkmcnt(4)
	v_mul_f64 v[161:162], v[16:17], v[82:83]
	s_waitcnt vmcnt(13) lgkmcnt(3)
	v_mul_f64 v[165:166], v[20:21], v[129:130]
	s_waitcnt vmcnt(12)
	v_mul_f64 v[0:1], v[24:25], v[78:79]
	v_mul_f64 v[78:79], v[22:23], v[78:79]
	s_waitcnt vmcnt(11)
	v_mul_f64 v[163:164], v[48:49], v[121:122]
	s_waitcnt vmcnt(10) lgkmcnt(2)
	v_mul_f64 v[167:168], v[88:89], v[133:134]
	v_mul_f64 v[129:130], v[18:19], v[129:130]
	;; [unrolled: 1-line block ×5, first 2 shown]
	s_waitcnt vmcnt(9)
	v_mul_f64 v[172:173], v[101:102], v[125:126]
	v_mul_f64 v[125:126], v[99:100], v[125:126]
	v_fma_f64 v[0:1], v[50:51], v[22:23], -v[0:1]
	v_fma_f64 v[22:23], v[50:51], v[24:25], v[78:79]
	v_fma_f64 v[24:25], v[4:5], v[46:47], -v[163:164]
	v_fma_f64 v[18:19], v[8:9], v[18:19], -v[165:166]
	;; [unrolled: 1-line block ×3, first 2 shown]
	v_fma_f64 v[8:9], v[8:9], v[20:21], v[129:130]
	v_fma_f64 v[12:13], v[12:13], v[88:89], v[133:134]
	s_waitcnt vmcnt(8) lgkmcnt(1)
	v_mul_f64 v[174:175], v[105:106], v[137:138]
	v_mul_f64 v[137:138], v[103:104], v[137:138]
	s_waitcnt vmcnt(6)
	v_mul_f64 v[178:179], v[113:114], v[127:128]
	s_waitcnt vmcnt(5)
	v_mul_f64 v[180:181], v[117:118], v[131:132]
	v_mul_f64 v[127:128], v[111:112], v[127:128]
	v_mul_f64 v[131:132], v[115:116], v[131:132]
	v_fma_f64 v[16:17], v[54:55], v[16:17], v[82:83]
	v_fma_f64 v[4:5], v[4:5], v[48:49], v[121:122]
	;; [unrolled: 1-line block ×3, first 2 shown]
	v_add_f64 v[101:102], v[8:9], v[12:13]
	v_mul_f64 v[176:177], v[109:110], v[119:120]
	v_mul_f64 v[119:120], v[107:108], v[119:120]
	v_fma_f64 v[14:15], v[54:55], v[14:15], -v[161:162]
	v_fma_f64 v[48:49], v[30:31], v[99:100], -v[172:173]
	;; [unrolled: 1-line block ×3, first 2 shown]
	v_fma_f64 v[30:31], v[72:73], v[105:106], v[137:138]
	v_fma_f64 v[72:73], v[6:7], v[111:112], -v[178:179]
	v_fma_f64 v[78:79], v[10:11], v[115:116], -v[180:181]
	v_fma_f64 v[82:83], v[6:7], v[113:114], v[127:128]
	v_fma_f64 v[86:87], v[10:11], v[117:118], v[131:132]
	ds_read_b64 v[131:132], v211
	v_add_f64 v[6:7], v[22:23], v[16:17]
	v_add_f64 v[10:11], v[18:19], v[46:47]
	v_add_f64 v[99:100], v[8:9], -v[12:13]
	v_add_f64 v[103:104], v[18:19], -v[46:47]
	v_add_f64 v[8:9], v[4:5], v[8:9]
	v_fma_f64 v[4:5], v[101:102], -0.5, v[4:5]
	v_fma_f64 v[54:55], v[2:3], v[107:108], -v[176:177]
	v_fma_f64 v[88:89], v[2:3], v[109:110], v[119:120]
	v_add_f64 v[2:3], v[0:1], -v[14:15]
	v_add_f64 v[105:106], v[22:23], v[74:75]
	v_add_f64 v[107:108], v[0:1], v[14:15]
	;; [unrolled: 1-line block ×3, first 2 shown]
	v_fma_f64 v[10:11], v[10:11], -0.5, v[24:25]
	v_fma_f64 v[6:7], v[6:7], -0.5, v[74:75]
	v_fma_f64 v[74:75], v[103:104], s[0:1], v[4:5]
	v_add_f64 v[22:23], v[22:23], -v[16:17]
	v_add_f64 v[18:19], v[24:25], v[18:19]
	v_add_f64 v[24:25], v[72:73], v[78:79]
	v_add_f64 v[16:17], v[16:17], v[105:106]
	v_fma_f64 v[4:5], v[103:104], s[2:3], v[4:5]
	v_fma_f64 v[105:106], v[99:100], s[0:1], v[10:11]
	;; [unrolled: 1-line block ×3, first 2 shown]
	v_add_f64 v[12:13], v[8:9], v[12:13]
	v_fma_f64 v[8:9], v[107:108], -0.5, v[40:41]
	v_add_f64 v[40:41], v[0:1], v[14:15]
	v_mul_f64 v[0:1], v[74:75], -0.5
	v_add_f64 v[101:102], v[82:83], -v[86:87]
	v_add_f64 v[111:112], v[82:83], v[86:87]
	v_add_f64 v[46:47], v[18:19], v[46:47]
	v_mul_f64 v[14:15], v[105:106], s[2:3]
	v_mul_f64 v[18:19], v[10:11], -0.5
	v_mul_f64 v[99:100], v[4:5], s[0:1]
	v_fma_f64 v[103:104], v[2:3], s[0:1], v[6:7]
	v_fma_f64 v[113:114], v[22:23], s[2:3], v[8:9]
	;; [unrolled: 1-line block ×4, first 2 shown]
	v_fma_f64 v[24:25], v[24:25], -0.5, v[54:55]
	v_add_f64 v[109:110], v[72:73], -v[78:79]
	v_fma_f64 v[107:108], v[2:3], s[2:3], v[6:7]
	v_fma_f64 v[117:118], v[4:5], 0.5, v[14:15]
	v_fma_f64 v[74:75], v[74:75], s[0:1], v[18:19]
	v_fma_f64 v[99:100], v[105:106], 0.5, v[99:100]
	v_fma_f64 v[105:106], v[111:112], -0.5, v[88:89]
	v_add_f64 v[10:11], v[16:17], -v[12:13]
	v_add_f64 v[2:3], v[103:104], -v[22:23]
	v_add_f64 v[14:15], v[103:104], v[22:23]
	v_add_f64 v[22:23], v[16:17], v[12:13]
	;; [unrolled: 1-line block ×3, first 2 shown]
	v_fma_f64 v[103:104], v[101:102], s[0:1], v[24:25]
	v_add_f64 v[111:112], v[48:49], v[50:51]
	v_fma_f64 v[24:25], v[101:102], s[2:3], v[24:25]
	v_add_f64 v[0:1], v[113:114], -v[74:75]
	v_add_f64 v[12:13], v[113:114], v[74:75]
	v_fma_f64 v[74:75], v[109:110], s[0:1], v[105:106]
	v_fma_f64 v[105:106], v[109:110], s[2:3], v[105:106]
	s_waitcnt lgkmcnt(1)
	v_fma_f64 v[16:17], v[16:17], -0.5, v[26:27]
	v_add_f64 v[26:27], v[20:21], v[26:27]
	v_add_f64 v[82:83], v[88:89], v[82:83]
	v_fma_f64 v[88:89], v[111:112], -0.5, v[44:45]
	v_add_f64 v[111:112], v[20:21], -v[30:31]
	v_mul_f64 v[20:21], v[24:25], -0.5
	v_add_f64 v[6:7], v[107:108], -v[117:118]
	v_add_f64 v[18:19], v[107:108], v[117:118]
	v_add_f64 v[107:108], v[48:49], -v[50:51]
	v_mul_f64 v[101:102], v[74:75], -0.5
	v_mul_f64 v[109:110], v[103:104], s[2:3]
	v_add_f64 v[8:9], v[40:41], -v[46:47]
	v_add_f64 v[4:5], v[115:116], -v[99:100]
	v_fma_f64 v[167:168], v[74:75], s[0:1], v[20:21]
	v_mul_f64 v[74:75], v[105:106], s[0:1]
	v_add_f64 v[82:83], v[82:83], v[86:87]
	v_fma_f64 v[133:134], v[107:108], s[0:1], v[16:17]
	v_fma_f64 v[137:138], v[24:25], s[2:3], v[101:102]
	;; [unrolled: 1-line block ×3, first 2 shown]
	v_fma_f64 v[163:164], v[105:106], 0.5, v[109:110]
	v_fma_f64 v[86:87], v[111:112], s[2:3], v[88:89]
	v_add_f64 v[16:17], v[115:116], v[99:100]
	v_add_f64 v[20:21], v[40:41], v[46:47]
	ds_read2_b64 v[99:102], v98 offset1:16
	v_fma_f64 v[40:41], v[111:112], s[0:1], v[88:89]
	v_fma_f64 v[88:89], v[103:104], 0.5, v[74:75]
	ds_read2_b64 v[103:106], v98 offset0:160 offset1:176
	v_lshlrev_b64 v[107:108], 4, v[159:160]
	s_waitcnt vmcnt(3) lgkmcnt(1)
	v_mul_f64 v[74:75], v[143:144], v[101:102]
	v_add_co_u32_e32 v129, vcc, s12, v107
	v_addc_co_u32_e32 v130, vcc, v169, v108, vcc
	s_waitcnt vmcnt(0) lgkmcnt(0)
	v_mul_f64 v[159:160], v[155:156], v[105:106]
	global_load_dwordx4 v[107:110], v[129:130], off offset:1152
	global_load_dwordx4 v[111:114], v[129:130], off offset:1120
	;; [unrolled: 1-line block ×4, first 2 shown]
	ds_read2_b64 v[125:128], v209 offset0:96 offset1:112
	v_add_f64 v[44:45], v[44:45], v[48:49]
	v_add_f64 v[48:49], v[54:55], v[72:73]
	v_mul_f64 v[54:55], v[145:146], v[101:102]
	v_mul_f64 v[72:73], v[157:158], v[105:106]
	v_fma_f64 v[101:102], v[68:69], v[145:146], v[74:75]
	s_waitcnt lgkmcnt(0)
	v_mul_f64 v[74:75], v[151:152], v[127:128]
	v_fma_f64 v[105:106], v[64:65], v[157:158], v[159:160]
	v_mul_f64 v[145:146], v[147:148], v[123:124]
	v_mul_f64 v[157:158], v[139:140], v[135:136]
	;; [unrolled: 1-line block ×3, first 2 shown]
	v_fma_f64 v[54:55], v[68:69], v[143:144], -v[54:55]
	v_fma_f64 v[64:65], v[64:65], v[155:156], -v[72:73]
	global_load_dwordx4 v[127:130], v[129:130], off offset:1136
	v_fma_f64 v[72:73], v[60:61], v[153:154], v[74:75]
	v_add_f64 v[68:69], v[101:102], v[105:106]
	v_mul_f64 v[74:75], v[149:150], v[123:124]
	v_mul_f64 v[123:124], v[141:142], v[135:136]
	v_fma_f64 v[135:136], v[28:29], v[149:150], v[145:146]
	v_fma_f64 v[143:144], v[70:71], v[141:142], v[157:158]
	v_fma_f64 v[151:152], v[60:61], v[151:152], -v[159:160]
	v_add_f64 v[60:61], v[54:55], v[64:65]
	v_add_f64 v[141:142], v[54:55], -v[64:65]
	v_fma_f64 v[145:146], v[68:69], -0.5, v[72:73]
	v_fma_f64 v[155:156], v[28:29], v[147:148], -v[74:75]
	v_add_f64 v[68:69], v[101:102], -v[105:106]
	v_add_f64 v[165:166], v[30:31], v[26:27]
	v_add_f64 v[78:79], v[48:49], v[78:79]
	v_fma_f64 v[123:124], v[70:71], v[139:140], -v[123:124]
	v_fma_f64 v[60:61], v[60:61], -0.5, v[151:152]
	v_add_f64 v[48:49], v[135:136], v[143:144]
	v_fma_f64 v[147:148], v[141:142], s[0:1], v[145:146]
	v_add_f64 v[26:27], v[133:134], -v[137:138]
	v_add_f64 v[153:154], v[44:45], v[50:51]
	v_add_f64 v[46:47], v[165:166], -v[82:83]
	v_add_f64 v[28:29], v[40:41], -v[88:89]
	v_add_f64 v[50:51], v[133:134], v[137:138]
	v_fma_f64 v[139:140], v[68:69], s[2:3], v[60:61]
	v_add_f64 v[133:134], v[155:156], -v[123:124]
	v_mul_f64 v[149:150], v[147:148], -0.5
	v_fma_f64 v[137:138], v[48:49], -0.5, v[131:132]
	v_add_f64 v[74:75], v[165:166], v[82:83]
	v_fma_f64 v[82:83], v[68:69], s[0:1], v[60:61]
	v_add_f64 v[68:69], v[40:41], v[88:89]
	v_add_f64 v[40:41], v[155:156], v[123:124]
	;; [unrolled: 1-line block ×3, first 2 shown]
	v_mul_u32_u24_e32 v131, 5, v204
	v_add_f64 v[30:31], v[161:162], -v[163:164]
	v_add_f64 v[70:71], v[161:162], v[163:164]
	v_fma_f64 v[161:162], v[139:140], s[2:3], v[149:150]
	v_lshlrev_b32_e32 v149, 4, v131
	ds_read_b64 v[157:158], v210
	v_fma_f64 v[159:160], v[133:134], s[0:1], v[137:138]
	v_fma_f64 v[163:164], v[133:134], s[2:3], v[137:138]
	;; [unrolled: 1-line block ×3, first 2 shown]
	v_add_f64 v[72:73], v[72:73], v[101:102]
	v_fma_f64 v[101:102], v[40:41], -0.5, v[94:95]
	v_add_f64 v[165:166], v[135:136], -v[143:144]
	v_mul_f64 v[40:41], v[139:140], -0.5
	global_load_dwordx4 v[131:134], v149, s[12:13] offset:1168
	global_load_dwordx4 v[135:138], v149, s[12:13] offset:1152
	;; [unrolled: 1-line block ×3, first 2 shown]
	v_add_f64 v[172:173], v[143:144], v[88:89]
	v_add_f64 v[44:45], v[153:154], -v[78:79]
	v_add_f64 v[174:175], v[72:73], v[105:106]
	v_add_f64 v[72:73], v[153:154], v[78:79]
	v_fma_f64 v[176:177], v[165:166], s[2:3], v[101:102]
	v_fma_f64 v[178:179], v[147:148], s[0:1], v[40:41]
	global_load_dwordx4 v[143:146], v149, s[12:13] offset:1136
	s_nop 0
	global_load_dwordx4 v[147:150], v149, s[12:13] offset:1120
	v_fma_f64 v[78:79], v[165:166], s[0:1], v[101:102]
	v_add_f64 v[94:95], v[94:95], v[155:156]
	v_mul_f64 v[105:106], v[60:61], s[0:1]
	v_add_f64 v[24:25], v[86:87], -v[167:168]
	v_add_f64 v[48:49], v[86:87], v[167:168]
	v_mul_f64 v[86:87], v[82:83], s[2:3]
	v_add_f64 v[54:55], v[151:152], v[54:55]
	v_add_f64 v[88:89], v[159:160], -v[161:162]
	s_waitcnt vmcnt(9)
	v_mul_f64 v[153:154], v[109:110], v[99:100]
	v_mul_f64 v[165:166], v[107:108], v[99:100]
	s_waitcnt vmcnt(6)
	v_mul_f64 v[155:156], v[119:120], v[103:104]
	v_mul_f64 v[180:181], v[121:122], v[103:104]
	;; [unrolled: 1-line block ×3, first 2 shown]
	v_fma_f64 v[82:83], v[82:83], 0.5, v[105:106]
	ds_read2_b64 v[99:102], v209 offset0:160 offset1:176
	ds_read2_b64 v[103:106], v98 offset0:64 offset1:80
	v_add_f64 v[94:95], v[94:95], v[123:124]
	v_fma_f64 v[153:154], v[66:67], v[107:108], -v[153:154]
	v_fma_f64 v[66:67], v[66:67], v[109:110], v[165:166]
	v_mul_f64 v[107:108], v[111:112], v[125:126]
	v_fma_f64 v[121:122], v[62:63], v[121:122], v[155:156]
	v_fma_f64 v[119:120], v[62:63], v[119:120], -v[180:181]
	s_waitcnt lgkmcnt(0)
	v_mul_f64 v[109:110], v[115:116], v[105:106]
	v_fma_f64 v[123:124], v[58:59], v[111:112], -v[182:183]
	v_add_f64 v[54:55], v[54:55], v[64:65]
	s_waitcnt vmcnt(5)
	v_mul_f64 v[62:63], v[127:128], v[101:102]
	v_mul_f64 v[64:65], v[129:130], v[101:102]
	v_fma_f64 v[113:114], v[58:59], v[113:114], v[107:108]
	v_add_f64 v[58:59], v[66:67], v[121:122]
	v_add_f64 v[107:108], v[153:154], v[119:120]
	v_mul_f64 v[101:102], v[117:118], v[105:106]
	v_fma_f64 v[117:118], v[38:39], v[117:118], v[109:110]
	v_add_f64 v[111:112], v[66:67], -v[121:122]
	v_fma_f64 v[125:126], v[34:35], v[129:130], v[62:63]
	v_add_f64 v[62:63], v[153:154], -v[119:120]
	v_fma_f64 v[34:35], v[34:35], v[127:128], -v[64:65]
	v_fma_f64 v[105:106], v[58:59], -0.5, v[113:114]
	v_fma_f64 v[109:110], v[107:108], -0.5, v[123:124]
	v_fma_f64 v[101:102], v[38:39], v[115:116], -v[101:102]
	v_add_f64 v[38:39], v[78:79], -v[82:83]
	v_add_f64 v[64:65], v[159:160], v[161:162]
	v_add_f64 v[115:116], v[125:126], v[117:118]
	;; [unrolled: 1-line block ×3, first 2 shown]
	v_add_f64 v[58:59], v[94:95], -v[54:55]
	v_fma_f64 v[127:128], v[62:63], s[0:1], v[105:106]
	v_fma_f64 v[129:130], v[111:112], s[0:1], v[109:110]
	;; [unrolled: 1-line block ×4, first 2 shown]
	v_add_f64 v[105:106], v[78:79], v[82:83]
	v_fma_f64 v[115:116], v[115:116], -0.5, v[157:158]
	v_add_f64 v[78:79], v[34:35], v[101:102]
	v_add_f64 v[157:158], v[125:126], v[157:158]
	v_mul_f64 v[109:110], v[127:128], -0.5
	v_add_f64 v[113:114], v[125:126], -v[117:118]
	v_mul_f64 v[125:126], v[159:160], -0.5
	v_add_f64 v[66:67], v[66:67], v[121:122]
	v_fma_f64 v[167:168], v[60:61], 0.5, v[86:87]
	v_add_f64 v[151:152], v[34:35], -v[101:102]
	v_add_f64 v[34:35], v[92:93], v[34:35]
	v_add_f64 v[117:118], v[117:118], v[157:158]
	v_fma_f64 v[165:166], v[159:160], s[2:3], v[109:110]
	v_add_f64 v[109:110], v[94:95], v[54:55]
	v_fma_f64 v[94:95], v[78:79], -0.5, v[92:93]
	v_fma_f64 v[125:126], v[127:128], s[0:1], v[125:126]
	v_add_f64 v[40:41], v[163:164], -v[167:168]
	v_add_f64 v[107:108], v[163:164], v[167:168]
	v_mul_f64 v[163:164], v[129:130], s[2:3]
	v_fma_f64 v[82:83], v[151:152], s[0:1], v[115:116]
	v_fma_f64 v[115:116], v[151:152], s[2:3], v[115:116]
	ds_read_b64 v[155:156], v208
	v_fma_f64 v[159:160], v[113:114], s[2:3], v[94:95]
	s_waitcnt vmcnt(3)
	v_mul_f64 v[157:158], v[135:136], v[80:81]
	s_waitcnt vmcnt(2)
	v_mul_f64 v[121:122], v[139:140], v[84:85]
	v_fma_f64 v[113:114], v[113:114], s[0:1], v[94:95]
	v_mul_f64 v[80:81], v[137:138], v[80:81]
	v_mul_f64 v[84:85], v[141:142], v[84:85]
	v_fma_f64 v[151:152], v[161:162], 0.5, v[163:164]
	v_add_f64 v[54:55], v[82:83], -v[165:166]
	v_add_f64 v[82:83], v[82:83], v[165:166]
	v_fma_f64 v[127:128], v[52:53], v[137:138], v[157:158]
	s_waitcnt vmcnt(0)
	v_mul_f64 v[94:95], v[42:43], v[149:150]
	v_fma_f64 v[121:122], v[56:57], v[141:142], v[121:122]
	v_mul_f64 v[141:142], v[32:33], v[145:146]
	v_mul_f64 v[149:150], v[76:77], v[149:150]
	v_fma_f64 v[135:136], v[52:53], v[135:136], -v[80:81]
	v_fma_f64 v[56:57], v[56:57], v[139:140], -v[84:85]
	v_mul_f64 v[157:158], v[131:132], v[103:104]
	v_mul_f64 v[80:81], v[133:134], v[103:104]
	v_fma_f64 v[84:85], v[147:148], v[76:77], v[94:95]
	v_add_f64 v[52:53], v[127:128], v[121:122]
	v_fma_f64 v[103:104], v[143:144], v[99:100], v[141:142]
	v_fma_f64 v[42:43], v[42:43], v[147:148], -v[149:150]
	v_mul_f64 v[137:138], v[161:162], s[0:1]
	v_add_f64 v[94:95], v[135:136], v[56:57]
	v_add_f64 v[139:140], v[135:136], -v[56:57]
	v_mul_f64 v[76:77], v[99:100], v[145:146]
	v_add_f64 v[92:93], v[127:128], -v[121:122]
	v_fma_f64 v[141:142], v[52:53], -0.5, v[84:85]
	v_add_f64 v[52:53], v[123:124], v[153:154]
	v_fma_f64 v[123:124], v[36:37], v[131:132], -v[80:81]
	v_fma_f64 v[133:134], v[36:37], v[133:134], v[157:158]
	v_fma_f64 v[80:81], v[94:95], -0.5, v[42:43]
	v_fma_f64 v[98:99], v[129:130], 0.5, v[137:138]
	v_fma_f64 v[32:33], v[32:33], v[143:144], -v[76:77]
	v_add_f64 v[129:130], v[34:35], v[101:102]
	v_fma_f64 v[131:132], v[139:140], s[0:1], v[141:142]
	v_add_f64 v[78:79], v[115:116], -v[151:152]
	v_add_f64 v[119:120], v[52:53], v[119:120]
	v_add_f64 v[76:77], v[103:104], v[133:134]
	v_fma_f64 v[145:146], v[92:93], s[2:3], v[80:81]
	v_add_f64 v[36:37], v[117:118], -v[66:67]
	v_add_f64 v[94:95], v[115:116], v[151:152]
	v_fma_f64 v[149:150], v[92:93], s[0:1], v[80:81]
	v_mul_f64 v[100:101], v[131:132], -0.5
	v_add_f64 v[137:138], v[32:33], -v[123:124]
	v_add_f64 v[34:35], v[129:130], -v[119:120]
	s_waitcnt lgkmcnt(0)
	v_fma_f64 v[143:144], v[76:77], -0.5, v[155:156]
	v_add_f64 v[76:77], v[113:114], -v[98:99]
	v_add_f64 v[92:93], v[113:114], v[98:99]
	v_add_f64 v[98:99], v[129:130], v[119:120]
	v_fma_f64 v[113:114], v[139:140], s[2:3], v[141:142]
	v_fma_f64 v[151:152], v[145:146], s[2:3], v[100:101]
	v_add_f64 v[100:101], v[117:118], v[66:67]
	v_add_f64 v[66:67], v[32:33], v[123:124]
	v_mul_f64 v[117:118], v[149:150], s[2:3]
	v_add_f64 v[119:120], v[103:104], v[155:156]
	v_add_f64 v[84:85], v[84:85], v[127:128]
	v_add_f64 v[102:103], v[103:104], -v[133:134]
	v_mul_f64 v[127:128], v[145:146], -0.5
	v_add_f64 v[42:43], v[42:43], v[135:136]
	v_add_f64 v[32:33], v[90:91], v[32:33]
	v_fma_f64 v[66:67], v[66:67], -0.5, v[90:91]
	v_add_f64 v[52:53], v[159:160], -v[125:126]
	v_fma_f64 v[147:148], v[137:138], s[0:1], v[143:144]
	v_add_f64 v[80:81], v[159:160], v[125:126]
	v_fma_f64 v[125:126], v[137:138], s[2:3], v[143:144]
	v_fma_f64 v[129:130], v[113:114], 0.5, v[117:118]
	v_mul_f64 v[113:114], v[113:114], s[0:1]
	v_add_f64 v[90:91], v[133:134], v[119:120]
	v_fma_f64 v[133:134], v[102:103], s[2:3], v[66:67]
	v_fma_f64 v[137:138], v[131:132], s[0:1], v[127:128]
	;; [unrolled: 1-line block ×3, first 2 shown]
	s_mov_b32 s0, 0xcccccccd
	v_mul_hi_u32 v104, v204, s0
	v_add_f64 v[42:43], v[42:43], v[56:57]
	s_movk_i32 s1, 0x50
	v_add_f64 v[32:33], v[32:33], v[123:124]
	v_lshrrev_b32_e32 v56, 6, v104
	v_mul_lo_u32 v56, v56, s1
	v_add_f64 v[84:85], v[84:85], v[121:122]
	v_fma_f64 v[102:103], v[149:150], 0.5, v[113:114]
	v_add_f64 v[119:120], v[125:126], -v[129:130]
	v_sub_u32_e32 v104, v204, v56
	v_mad_u64_u32 v[56:57], s[2:3], s20, v104, 0
	v_add_f64 v[113:114], v[133:134], -v[137:138]
	v_add_f64 v[121:122], v[32:33], -v[42:43]
	v_add_f64 v[131:132], v[125:126], v[129:130]
	v_add_f64 v[125:126], v[133:134], v[137:138]
	;; [unrolled: 1-line block ×3, first 2 shown]
	v_lshlrev_b64 v[32:33], 4, v[96:97]
	v_add_f64 v[123:124], v[90:91], -v[84:85]
	v_add_f64 v[135:136], v[90:91], v[84:85]
	v_mad_u64_u32 v[84:85], s[2:3], s21, v104, v[57:58]
	v_mov_b32_e32 v42, s11
	v_add_co_u32_e32 v43, vcc, s10, v32
	v_addc_co_u32_e32 v42, vcc, v42, v33, vcc
	v_lshlrev_b64 v[32:33], 4, v[170:171]
	v_add_f64 v[117:118], v[66:67], -v[102:103]
	v_add_f64 v[129:130], v[66:67], v[102:103]
	v_mov_b32_e32 v57, v84
	v_add_co_u32_e32 v32, vcc, v43, v32
	v_add_u32_e32 v66, 0x50, v104
	v_addc_co_u32_e32 v33, vcc, v42, v33, vcc
	v_lshlrev_b64 v[42:43], 4, v[56:57]
	v_mad_u64_u32 v[56:57], s[2:3], s20, v66, 0
	v_add_co_u32_e32 v42, vcc, v32, v42
	v_mad_u64_u32 v[66:67], s[2:3], s21, v66, v[57:58]
	v_add_u32_e32 v67, 0xa0, v104
	v_mad_u64_u32 v[84:85], s[2:3], s20, v67, 0
	v_addc_co_u32_e32 v43, vcc, v33, v43, vcc
	v_mov_b32_e32 v57, v66
	global_store_dwordx4 v[42:43], v[133:136], off
	v_lshlrev_b64 v[42:43], 4, v[56:57]
	v_mov_b32_e32 v56, v85
	v_mad_u64_u32 v[56:57], s[2:3], s21, v67, v[56:57]
	v_add_u32_e32 v66, 0xf0, v104
	v_add_f64 v[127:128], v[147:148], v[151:152]
	v_mov_b32_e32 v85, v56
	v_mad_u64_u32 v[56:57], s[2:3], s20, v66, 0
	v_add_co_u32_e32 v42, vcc, v32, v42
	v_mad_u64_u32 v[66:67], s[2:3], s21, v66, v[57:58]
	v_addc_co_u32_e32 v43, vcc, v33, v43, vcc
	v_add_u32_e32 v67, 0x140, v104
	global_store_dwordx4 v[42:43], v[129:132], off
	v_lshlrev_b64 v[42:43], 4, v[84:85]
	v_mad_u64_u32 v[84:85], s[2:3], s20, v67, 0
	v_add_co_u32_e32 v42, vcc, v32, v42
	v_addc_co_u32_e32 v43, vcc, v33, v43, vcc
	v_mov_b32_e32 v57, v66
	global_store_dwordx4 v[42:43], v[125:128], off
	v_lshlrev_b64 v[42:43], 4, v[56:57]
	v_mov_b32_e32 v56, v85
	v_add_u32_e32 v66, 16, v204
	v_mad_u64_u32 v[56:57], s[2:3], s21, v67, v[56:57]
	v_mul_hi_u32 v67, v66, s0
	v_add_co_u32_e32 v42, vcc, v32, v42
	v_addc_co_u32_e32 v43, vcc, v33, v43, vcc
	v_mov_b32_e32 v85, v56
	v_lshrrev_b32_e32 v67, 6, v67
	global_store_dwordx4 v[42:43], v[121:124], off
	v_lshlrev_b64 v[42:43], 4, v[84:85]
	v_mul_lo_u32 v85, v67, s1
	v_add_u32_e32 v84, 0x190, v104
	v_mad_u64_u32 v[56:57], s[2:3], s20, v84, 0
	v_sub_u32_e32 v66, v66, v85
	s_movk_i32 s2, 0x1e0
	v_mad_u64_u32 v[66:67], s[4:5], v67, s2, v[66:67]
	v_mad_u64_u32 v[84:85], s[4:5], s21, v84, v[57:58]
	;; [unrolled: 1-line block ×3, first 2 shown]
	v_add_co_u32_e32 v42, vcc, v32, v42
	v_addc_co_u32_e32 v43, vcc, v33, v43, vcc
	v_mov_b32_e32 v57, v84
	global_store_dwordx4 v[42:43], v[117:120], off
	v_lshlrev_b64 v[42:43], 4, v[56:57]
	v_mov_b32_e32 v56, v91
	v_mad_u64_u32 v[56:57], s[4:5], s21, v66, v[56:57]
	v_add_f64 v[115:116], v[147:148], -v[151:152]
	v_add_u32_e32 v67, 0x50, v66
	v_mov_b32_e32 v91, v56
	v_mad_u64_u32 v[56:57], s[4:5], s20, v67, 0
	v_add_co_u32_e32 v42, vcc, v32, v42
	v_addc_co_u32_e32 v43, vcc, v33, v43, vcc
	v_mad_u64_u32 v[84:85], s[4:5], s21, v67, v[57:58]
	v_add_u32_e32 v67, 0xa0, v66
	global_store_dwordx4 v[42:43], v[113:116], off
	v_lshlrev_b64 v[42:43], 4, v[90:91]
	v_mad_u64_u32 v[90:91], s[4:5], s20, v67, 0
	v_add_co_u32_e32 v42, vcc, v32, v42
	v_addc_co_u32_e32 v43, vcc, v33, v43, vcc
	v_mov_b32_e32 v57, v84
	global_store_dwordx4 v[42:43], v[98:101], off
	v_lshlrev_b64 v[42:43], 4, v[56:57]
	v_mov_b32_e32 v56, v91
	v_mad_u64_u32 v[56:57], s[4:5], s21, v67, v[56:57]
	v_add_u32_e32 v67, 0xf0, v66
	v_add_co_u32_e32 v42, vcc, v32, v42
	v_mov_b32_e32 v91, v56
	v_mad_u64_u32 v[56:57], s[4:5], s20, v67, 0
	v_addc_co_u32_e32 v43, vcc, v33, v43, vcc
	v_mad_u64_u32 v[84:85], s[4:5], s21, v67, v[57:58]
	global_store_dwordx4 v[42:43], v[92:95], off
	v_lshlrev_b64 v[42:43], 4, v[90:91]
	v_mov_b32_e32 v57, v84
	v_add_co_u32_e32 v42, vcc, v32, v42
	v_addc_co_u32_e32 v43, vcc, v33, v43, vcc
	global_store_dwordx4 v[42:43], v[80:83], off
	v_lshlrev_b64 v[42:43], 4, v[56:57]
	v_add_u32_e32 v67, 0x140, v66
	v_add_co_u32_e32 v42, vcc, v32, v42
	v_addc_co_u32_e32 v43, vcc, v33, v43, vcc
	v_mad_u64_u32 v[90:91], s[4:5], s20, v67, 0
	global_store_dwordx4 v[42:43], v[34:37], off
	v_add_u32_e32 v42, 32, v204
	v_mul_hi_u32 v43, v42, s0
	v_mov_b32_e32 v56, v91
	v_mad_u64_u32 v[56:57], s[4:5], s21, v67, v[56:57]
	v_lshrrev_b32_e32 v43, 6, v43
	v_mul_lo_u32 v57, v43, s1
	v_mov_b32_e32 v91, v56
	v_add_u32_e32 v56, 0x190, v66
	v_mad_u64_u32 v[36:37], s[4:5], s20, v56, 0
	v_sub_u32_e32 v42, v42, v57
	v_mad_u64_u32 v[42:43], s[4:5], v43, s2, v[42:43]
	v_mad_u64_u32 v[56:57], s[4:5], s21, v56, v[37:38]
	v_lshlrev_b64 v[34:35], 4, v[90:91]
	v_mad_u64_u32 v[66:67], s[4:5], s20, v42, 0
	v_add_co_u32_e32 v34, vcc, v32, v34
	v_addc_co_u32_e32 v35, vcc, v33, v35, vcc
	v_mov_b32_e32 v37, v56
	global_store_dwordx4 v[34:35], v[76:79], off
	v_lshlrev_b64 v[34:35], 4, v[36:37]
	v_mov_b32_e32 v36, v67
	v_mad_u64_u32 v[36:37], s[4:5], s21, v42, v[36:37]
	v_add_u32_e32 v43, 0x50, v42
	v_add_f64 v[111:112], v[172:173], v[174:175]
	v_mov_b32_e32 v67, v36
	v_mad_u64_u32 v[36:37], s[4:5], s20, v43, 0
	v_add_co_u32_e32 v34, vcc, v32, v34
	v_addc_co_u32_e32 v35, vcc, v33, v35, vcc
	global_store_dwordx4 v[34:35], v[52:55], off
	v_lshlrev_b64 v[34:35], 4, v[66:67]
	v_mad_u64_u32 v[52:53], s[4:5], s21, v43, v[37:38]
	v_add_u32_e32 v43, 0xa0, v42
	v_mad_u64_u32 v[53:54], s[4:5], s20, v43, 0
	v_add_co_u32_e32 v34, vcc, v32, v34
	v_addc_co_u32_e32 v35, vcc, v33, v35, vcc
	v_mov_b32_e32 v37, v52
	global_store_dwordx4 v[34:35], v[109:112], off
	v_lshlrev_b64 v[34:35], 4, v[36:37]
	v_mov_b32_e32 v36, v54
	v_mad_u64_u32 v[36:37], s[4:5], s21, v43, v[36:37]
	v_add_u32_e32 v43, 0xf0, v42
	v_add_f64 v[62:63], v[176:177], v[178:179]
	v_mov_b32_e32 v54, v36
	v_mad_u64_u32 v[36:37], s[4:5], s20, v43, 0
	v_add_co_u32_e32 v34, vcc, v32, v34
	v_addc_co_u32_e32 v35, vcc, v33, v35, vcc
	global_store_dwordx4 v[34:35], v[105:108], off
	v_lshlrev_b64 v[34:35], 4, v[53:54]
	v_mad_u64_u32 v[52:53], s[4:5], s21, v43, v[37:38]
	v_add_u32_e32 v43, 0x140, v42
	v_mad_u64_u32 v[53:54], s[4:5], s20, v43, 0
	v_add_co_u32_e32 v34, vcc, v32, v34
	v_add_f64 v[60:61], v[172:173], -v[174:175]
	v_addc_co_u32_e32 v35, vcc, v33, v35, vcc
	v_mov_b32_e32 v37, v52
	global_store_dwordx4 v[34:35], v[62:65], off
	v_lshlrev_b64 v[34:35], 4, v[36:37]
	v_mov_b32_e32 v36, v54
	v_mad_u64_u32 v[36:37], s[4:5], s21, v43, v[36:37]
	v_add_u32_e32 v43, 48, v204
	v_mul_hi_u32 v52, v43, s0
	v_add_co_u32_e32 v34, vcc, v32, v34
	v_addc_co_u32_e32 v35, vcc, v33, v35, vcc
	v_mov_b32_e32 v54, v36
	v_lshrrev_b32_e32 v52, 6, v52
	global_store_dwordx4 v[34:35], v[58:61], off
	v_lshlrev_b64 v[34:35], 4, v[53:54]
	v_add_u32_e32 v53, 0x190, v42
	v_mul_lo_u32 v42, v52, s1
	v_mad_u64_u32 v[36:37], s[4:5], s20, v53, 0
	v_add_co_u32_e32 v34, vcc, v32, v34
	v_sub_u32_e32 v42, v43, v42
	v_mad_u64_u32 v[42:43], s[4:5], v52, s2, v[42:43]
	v_mad_u64_u32 v[52:53], s[4:5], s21, v53, v[37:38]
	;; [unrolled: 1-line block ×3, first 2 shown]
	v_addc_co_u32_e32 v35, vcc, v33, v35, vcc
	v_mov_b32_e32 v37, v52
	global_store_dwordx4 v[34:35], v[38:41], off
	v_lshlrev_b64 v[34:35], 4, v[36:37]
	v_mov_b32_e32 v36, v54
	v_mad_u64_u32 v[36:37], s[4:5], s21, v42, v[36:37]
	v_add_f64 v[86:87], v[176:177], -v[178:179]
	v_add_u32_e32 v38, 0x50, v42
	v_mov_b32_e32 v54, v36
	v_mad_u64_u32 v[36:37], s[4:5], s20, v38, 0
	v_add_co_u32_e32 v34, vcc, v32, v34
	v_addc_co_u32_e32 v35, vcc, v33, v35, vcc
	v_mad_u64_u32 v[37:38], s[4:5], s21, v38, v[37:38]
	v_add_u32_e32 v40, 0xa0, v42
	global_store_dwordx4 v[34:35], v[86:89], off
	v_lshlrev_b64 v[34:35], 4, v[53:54]
	v_mad_u64_u32 v[38:39], s[4:5], s20, v40, 0
	v_add_co_u32_e32 v34, vcc, v32, v34
	v_addc_co_u32_e32 v35, vcc, v33, v35, vcc
	global_store_dwordx4 v[34:35], v[72:75], off
	v_lshlrev_b64 v[34:35], 4, v[36:37]
	v_mov_b32_e32 v36, v39
	v_mad_u64_u32 v[36:37], s[4:5], s21, v40, v[36:37]
	v_add_co_u32_e32 v34, vcc, v32, v34
	v_addc_co_u32_e32 v35, vcc, v33, v35, vcc
	v_mov_b32_e32 v39, v36
	global_store_dwordx4 v[34:35], v[68:71], off
	v_lshlrev_b64 v[34:35], 4, v[38:39]
	v_add_u32_e32 v38, 0xf0, v42
	v_mad_u64_u32 v[36:37], s[4:5], s20, v38, 0
	v_add_u32_e32 v40, 0x140, v42
	v_add_co_u32_e32 v34, vcc, v32, v34
	v_mad_u64_u32 v[37:38], s[4:5], s21, v38, v[37:38]
	v_mad_u64_u32 v[38:39], s[4:5], s20, v40, 0
	v_addc_co_u32_e32 v35, vcc, v33, v35, vcc
	global_store_dwordx4 v[34:35], v[48:51], off
	v_lshlrev_b64 v[34:35], 4, v[36:37]
	v_mov_b32_e32 v36, v39
	v_mad_u64_u32 v[36:37], s[4:5], s21, v40, v[36:37]
	v_add_co_u32_e32 v34, vcc, v32, v34
	v_addc_co_u32_e32 v35, vcc, v33, v35, vcc
	v_mov_b32_e32 v39, v36
	global_store_dwordx4 v[34:35], v[44:47], off
	v_lshlrev_b64 v[34:35], 4, v[38:39]
	v_add_u32_e32 v39, 64, v204
	v_mul_hi_u32 v40, v39, s0
	v_add_co_u32_e32 v34, vcc, v32, v34
	v_add_u32_e32 v38, 0x190, v42
	v_addc_co_u32_e32 v35, vcc, v33, v35, vcc
	v_mad_u64_u32 v[36:37], s[4:5], s20, v38, 0
	global_store_dwordx4 v[34:35], v[28:31], off
	s_nop 0
	v_lshrrev_b32_e32 v30, 6, v40
	v_mul_lo_u32 v31, v30, s1
	v_mov_b32_e32 v28, v37
	v_mad_u64_u32 v[28:29], s[0:1], s21, v38, v[28:29]
	v_sub_u32_e32 v29, v39, v31
	v_mad_u64_u32 v[29:30], s[0:1], v30, s2, v[29:30]
	v_mov_b32_e32 v37, v28
	v_lshlrev_b64 v[30:31], 4, v[36:37]
	v_mad_u64_u32 v[34:35], s[0:1], s20, v29, 0
	v_add_co_u32_e32 v30, vcc, v32, v30
	v_mov_b32_e32 v28, v35
	v_mad_u64_u32 v[35:36], s[0:1], s21, v29, v[28:29]
	v_add_u32_e32 v28, 0x50, v29
	v_addc_co_u32_e32 v31, vcc, v33, v31, vcc
	v_mad_u64_u32 v[36:37], s[0:1], s20, v28, 0
	global_store_dwordx4 v[30:31], v[24:27], off
	s_nop 0
	v_lshlrev_b64 v[24:25], 4, v[34:35]
	v_mov_b32_e32 v26, v37
	v_add_co_u32_e32 v24, vcc, v32, v24
	v_addc_co_u32_e32 v25, vcc, v33, v25, vcc
	v_mad_u64_u32 v[26:27], s[0:1], s21, v28, v[26:27]
	global_store_dwordx4 v[24:25], v[20:23], off
	v_add_u32_e32 v24, 0xa0, v29
	v_mad_u64_u32 v[22:23], s[0:1], s20, v24, 0
	v_mov_b32_e32 v37, v26
	v_lshlrev_b64 v[20:21], 4, v[36:37]
	v_mad_u64_u32 v[23:24], s[0:1], s21, v24, v[23:24]
	v_add_co_u32_e32 v20, vcc, v32, v20
	v_addc_co_u32_e32 v21, vcc, v33, v21, vcc
	v_add_u32_e32 v26, 0xf0, v29
	v_mad_u64_u32 v[24:25], s[0:1], s20, v26, 0
	global_store_dwordx4 v[20:21], v[16:19], off
	s_nop 0
	v_lshlrev_b64 v[16:17], 4, v[22:23]
	v_mov_b32_e32 v18, v25
	v_add_co_u32_e32 v16, vcc, v32, v16
	v_addc_co_u32_e32 v17, vcc, v33, v17, vcc
	global_store_dwordx4 v[16:17], v[12:15], off
	v_add_u32_e32 v16, 0x140, v29
	v_mad_u64_u32 v[18:19], s[0:1], s21, v26, v[18:19]
	v_mad_u64_u32 v[14:15], s[0:1], s20, v16, 0
	v_mov_b32_e32 v25, v18
	v_add_u32_e32 v18, 0x190, v29
	v_mad_u64_u32 v[15:16], s[0:1], s21, v16, v[15:16]
	v_lshlrev_b64 v[12:13], 4, v[24:25]
	v_mad_u64_u32 v[16:17], s[0:1], s20, v18, 0
	v_add_co_u32_e32 v12, vcc, v32, v12
	v_addc_co_u32_e32 v13, vcc, v33, v13, vcc
	global_store_dwordx4 v[12:13], v[8:11], off
	s_nop 0
	v_mov_b32_e32 v10, v17
	v_mad_u64_u32 v[10:11], s[0:1], s21, v18, v[10:11]
	v_lshlrev_b64 v[8:9], 4, v[14:15]
	v_add_co_u32_e32 v8, vcc, v32, v8
	v_addc_co_u32_e32 v9, vcc, v33, v9, vcc
	v_mov_b32_e32 v17, v10
	global_store_dwordx4 v[8:9], v[4:7], off
	s_nop 0
	v_lshlrev_b64 v[4:5], 4, v[16:17]
	v_add_co_u32_e32 v4, vcc, v32, v4
	v_addc_co_u32_e32 v5, vcc, v33, v5, vcc
	global_store_dwordx4 v[4:5], v[0:3], off
.LBB0_23:
	s_endpgm
	.section	.rodata,"a",@progbits
	.p2align	6, 0x0
	.amdhsa_kernel fft_rtc_fwd_len480_factors_10_8_6_wgs_64_tpt_16_halfLds_dp_op_CI_CI_sbrr_dirReg
		.amdhsa_group_segment_fixed_size 0
		.amdhsa_private_segment_fixed_size 0
		.amdhsa_kernarg_size 104
		.amdhsa_user_sgpr_count 6
		.amdhsa_user_sgpr_private_segment_buffer 1
		.amdhsa_user_sgpr_dispatch_ptr 0
		.amdhsa_user_sgpr_queue_ptr 0
		.amdhsa_user_sgpr_kernarg_segment_ptr 1
		.amdhsa_user_sgpr_dispatch_id 0
		.amdhsa_user_sgpr_flat_scratch_init 0
		.amdhsa_user_sgpr_private_segment_size 0
		.amdhsa_uses_dynamic_stack 0
		.amdhsa_system_sgpr_private_segment_wavefront_offset 0
		.amdhsa_system_sgpr_workgroup_id_x 1
		.amdhsa_system_sgpr_workgroup_id_y 0
		.amdhsa_system_sgpr_workgroup_id_z 0
		.amdhsa_system_sgpr_workgroup_info 0
		.amdhsa_system_vgpr_workitem_id 0
		.amdhsa_next_free_vgpr 226
		.amdhsa_next_free_sgpr 32
		.amdhsa_reserve_vcc 1
		.amdhsa_reserve_flat_scratch 0
		.amdhsa_float_round_mode_32 0
		.amdhsa_float_round_mode_16_64 0
		.amdhsa_float_denorm_mode_32 3
		.amdhsa_float_denorm_mode_16_64 3
		.amdhsa_dx10_clamp 1
		.amdhsa_ieee_mode 1
		.amdhsa_fp16_overflow 0
		.amdhsa_exception_fp_ieee_invalid_op 0
		.amdhsa_exception_fp_denorm_src 0
		.amdhsa_exception_fp_ieee_div_zero 0
		.amdhsa_exception_fp_ieee_overflow 0
		.amdhsa_exception_fp_ieee_underflow 0
		.amdhsa_exception_fp_ieee_inexact 0
		.amdhsa_exception_int_div_zero 0
	.end_amdhsa_kernel
	.text
.Lfunc_end0:
	.size	fft_rtc_fwd_len480_factors_10_8_6_wgs_64_tpt_16_halfLds_dp_op_CI_CI_sbrr_dirReg, .Lfunc_end0-fft_rtc_fwd_len480_factors_10_8_6_wgs_64_tpt_16_halfLds_dp_op_CI_CI_sbrr_dirReg
                                        ; -- End function
	.section	.AMDGPU.csdata,"",@progbits
; Kernel info:
; codeLenInByte = 16536
; NumSgprs: 36
; NumVgprs: 226
; ScratchSize: 0
; MemoryBound: 1
; FloatMode: 240
; IeeeMode: 1
; LDSByteSize: 0 bytes/workgroup (compile time only)
; SGPRBlocks: 4
; VGPRBlocks: 56
; NumSGPRsForWavesPerEU: 36
; NumVGPRsForWavesPerEU: 226
; Occupancy: 1
; WaveLimiterHint : 1
; COMPUTE_PGM_RSRC2:SCRATCH_EN: 0
; COMPUTE_PGM_RSRC2:USER_SGPR: 6
; COMPUTE_PGM_RSRC2:TRAP_HANDLER: 0
; COMPUTE_PGM_RSRC2:TGID_X_EN: 1
; COMPUTE_PGM_RSRC2:TGID_Y_EN: 0
; COMPUTE_PGM_RSRC2:TGID_Z_EN: 0
; COMPUTE_PGM_RSRC2:TIDIG_COMP_CNT: 0
	.type	__hip_cuid_38a45064e1ddb183,@object ; @__hip_cuid_38a45064e1ddb183
	.section	.bss,"aw",@nobits
	.globl	__hip_cuid_38a45064e1ddb183
__hip_cuid_38a45064e1ddb183:
	.byte	0                               ; 0x0
	.size	__hip_cuid_38a45064e1ddb183, 1

	.ident	"AMD clang version 19.0.0git (https://github.com/RadeonOpenCompute/llvm-project roc-6.4.0 25133 c7fe45cf4b819c5991fe208aaa96edf142730f1d)"
	.section	".note.GNU-stack","",@progbits
	.addrsig
	.addrsig_sym __hip_cuid_38a45064e1ddb183
	.amdgpu_metadata
---
amdhsa.kernels:
  - .args:
      - .actual_access:  read_only
        .address_space:  global
        .offset:         0
        .size:           8
        .value_kind:     global_buffer
      - .offset:         8
        .size:           8
        .value_kind:     by_value
      - .actual_access:  read_only
        .address_space:  global
        .offset:         16
        .size:           8
        .value_kind:     global_buffer
      - .actual_access:  read_only
        .address_space:  global
        .offset:         24
        .size:           8
        .value_kind:     global_buffer
      - .actual_access:  read_only
        .address_space:  global
        .offset:         32
        .size:           8
        .value_kind:     global_buffer
      - .offset:         40
        .size:           8
        .value_kind:     by_value
      - .actual_access:  read_only
        .address_space:  global
        .offset:         48
        .size:           8
        .value_kind:     global_buffer
      - .actual_access:  read_only
        .address_space:  global
        .offset:         56
        .size:           8
        .value_kind:     global_buffer
      - .offset:         64
        .size:           4
        .value_kind:     by_value
      - .actual_access:  read_only
        .address_space:  global
        .offset:         72
        .size:           8
        .value_kind:     global_buffer
      - .actual_access:  read_only
        .address_space:  global
        .offset:         80
        .size:           8
        .value_kind:     global_buffer
      - .actual_access:  read_only
        .address_space:  global
        .offset:         88
        .size:           8
        .value_kind:     global_buffer
      - .actual_access:  write_only
        .address_space:  global
        .offset:         96
        .size:           8
        .value_kind:     global_buffer
    .group_segment_fixed_size: 0
    .kernarg_segment_align: 8
    .kernarg_segment_size: 104
    .language:       OpenCL C
    .language_version:
      - 2
      - 0
    .max_flat_workgroup_size: 64
    .name:           fft_rtc_fwd_len480_factors_10_8_6_wgs_64_tpt_16_halfLds_dp_op_CI_CI_sbrr_dirReg
    .private_segment_fixed_size: 0
    .sgpr_count:     36
    .sgpr_spill_count: 0
    .symbol:         fft_rtc_fwd_len480_factors_10_8_6_wgs_64_tpt_16_halfLds_dp_op_CI_CI_sbrr_dirReg.kd
    .uniform_work_group_size: 1
    .uses_dynamic_stack: false
    .vgpr_count:     226
    .vgpr_spill_count: 0
    .wavefront_size: 64
amdhsa.target:   amdgcn-amd-amdhsa--gfx906
amdhsa.version:
  - 1
  - 2
...

	.end_amdgpu_metadata
